;; amdgpu-corpus repo=ROCm/rocFFT kind=compiled arch=gfx906 opt=O3
	.text
	.amdgcn_target "amdgcn-amd-amdhsa--gfx906"
	.amdhsa_code_object_version 6
	.protected	fft_rtc_fwd_len3456_factors_6_6_6_4_4_wgs_144_tpt_144_halfLds_dp_op_CI_CI_unitstride_sbrr_dirReg ; -- Begin function fft_rtc_fwd_len3456_factors_6_6_6_4_4_wgs_144_tpt_144_halfLds_dp_op_CI_CI_unitstride_sbrr_dirReg
	.globl	fft_rtc_fwd_len3456_factors_6_6_6_4_4_wgs_144_tpt_144_halfLds_dp_op_CI_CI_unitstride_sbrr_dirReg
	.p2align	8
	.type	fft_rtc_fwd_len3456_factors_6_6_6_4_4_wgs_144_tpt_144_halfLds_dp_op_CI_CI_unitstride_sbrr_dirReg,@function
fft_rtc_fwd_len3456_factors_6_6_6_4_4_wgs_144_tpt_144_halfLds_dp_op_CI_CI_unitstride_sbrr_dirReg: ; @fft_rtc_fwd_len3456_factors_6_6_6_4_4_wgs_144_tpt_144_halfLds_dp_op_CI_CI_unitstride_sbrr_dirReg
; %bb.0:
	s_load_dwordx4 s[8:11], s[4:5], 0x58
	s_load_dwordx4 s[12:15], s[4:5], 0x0
	;; [unrolled: 1-line block ×3, first 2 shown]
	v_mul_u32_u24_e32 v1, 0x1c8, v0
	v_add_u32_sdwa v6, s6, v1 dst_sel:DWORD dst_unused:UNUSED_PAD src0_sel:DWORD src1_sel:WORD_1
	v_mov_b32_e32 v1, 0
	s_waitcnt lgkmcnt(0)
	v_cmp_lt_u64_e64 s[0:1], s[14:15], 2
	v_mov_b32_e32 v4, 0
	v_mov_b32_e32 v7, v1
	s_and_b64 vcc, exec, s[0:1]
	v_mov_b32_e32 v5, 0
	s_cbranch_vccnz .LBB0_8
; %bb.1:
	s_load_dwordx2 s[0:1], s[4:5], 0x10
	s_add_u32 s2, s18, 8
	s_addc_u32 s3, s19, 0
	s_add_u32 s6, s16, 8
	v_mov_b32_e32 v4, 0
	s_addc_u32 s7, s17, 0
	v_mov_b32_e32 v5, 0
	s_waitcnt lgkmcnt(0)
	s_add_u32 s20, s0, 8
	v_mov_b32_e32 v97, v5
	s_addc_u32 s21, s1, 0
	s_mov_b64 s[22:23], 1
	v_mov_b32_e32 v96, v4
.LBB0_2:                                ; =>This Inner Loop Header: Depth=1
	s_load_dwordx2 s[24:25], s[20:21], 0x0
                                        ; implicit-def: $vgpr98_vgpr99
	s_waitcnt lgkmcnt(0)
	v_or_b32_e32 v2, s25, v7
	v_cmp_ne_u64_e32 vcc, 0, v[1:2]
	s_and_saveexec_b64 s[0:1], vcc
	s_xor_b64 s[26:27], exec, s[0:1]
	s_cbranch_execz .LBB0_4
; %bb.3:                                ;   in Loop: Header=BB0_2 Depth=1
	v_cvt_f32_u32_e32 v2, s24
	v_cvt_f32_u32_e32 v3, s25
	s_sub_u32 s0, 0, s24
	s_subb_u32 s1, 0, s25
	v_mac_f32_e32 v2, 0x4f800000, v3
	v_rcp_f32_e32 v2, v2
	v_mul_f32_e32 v2, 0x5f7ffffc, v2
	v_mul_f32_e32 v3, 0x2f800000, v2
	v_trunc_f32_e32 v3, v3
	v_mac_f32_e32 v2, 0xcf800000, v3
	v_cvt_u32_f32_e32 v3, v3
	v_cvt_u32_f32_e32 v2, v2
	v_mul_lo_u32 v8, s0, v3
	v_mul_hi_u32 v9, s0, v2
	v_mul_lo_u32 v11, s1, v2
	v_mul_lo_u32 v10, s0, v2
	v_add_u32_e32 v8, v9, v8
	v_add_u32_e32 v8, v8, v11
	v_mul_hi_u32 v9, v2, v10
	v_mul_lo_u32 v11, v2, v8
	v_mul_hi_u32 v13, v2, v8
	v_mul_hi_u32 v12, v3, v10
	v_mul_lo_u32 v10, v3, v10
	v_mul_hi_u32 v14, v3, v8
	v_add_co_u32_e32 v9, vcc, v9, v11
	v_addc_co_u32_e32 v11, vcc, 0, v13, vcc
	v_mul_lo_u32 v8, v3, v8
	v_add_co_u32_e32 v9, vcc, v9, v10
	v_addc_co_u32_e32 v9, vcc, v11, v12, vcc
	v_addc_co_u32_e32 v10, vcc, 0, v14, vcc
	v_add_co_u32_e32 v8, vcc, v9, v8
	v_addc_co_u32_e32 v9, vcc, 0, v10, vcc
	v_add_co_u32_e32 v2, vcc, v2, v8
	v_addc_co_u32_e32 v3, vcc, v3, v9, vcc
	v_mul_lo_u32 v8, s0, v3
	v_mul_hi_u32 v9, s0, v2
	v_mul_lo_u32 v10, s1, v2
	v_mul_lo_u32 v11, s0, v2
	v_add_u32_e32 v8, v9, v8
	v_add_u32_e32 v8, v8, v10
	v_mul_lo_u32 v12, v2, v8
	v_mul_hi_u32 v13, v2, v11
	v_mul_hi_u32 v14, v2, v8
	v_mul_hi_u32 v10, v3, v11
	v_mul_lo_u32 v11, v3, v11
	v_mul_hi_u32 v9, v3, v8
	v_add_co_u32_e32 v12, vcc, v13, v12
	v_addc_co_u32_e32 v13, vcc, 0, v14, vcc
	v_mul_lo_u32 v8, v3, v8
	v_add_co_u32_e32 v11, vcc, v12, v11
	v_addc_co_u32_e32 v10, vcc, v13, v10, vcc
	v_addc_co_u32_e32 v9, vcc, 0, v9, vcc
	v_add_co_u32_e32 v8, vcc, v10, v8
	v_addc_co_u32_e32 v9, vcc, 0, v9, vcc
	v_add_co_u32_e32 v8, vcc, v2, v8
	v_addc_co_u32_e32 v9, vcc, v3, v9, vcc
	v_mad_u64_u32 v[2:3], s[0:1], v6, v9, 0
	v_mul_hi_u32 v10, v6, v8
	v_add_co_u32_e32 v10, vcc, v10, v2
	v_addc_co_u32_e32 v11, vcc, 0, v3, vcc
	v_mad_u64_u32 v[2:3], s[0:1], v7, v8, 0
	v_mad_u64_u32 v[8:9], s[0:1], v7, v9, 0
	v_add_co_u32_e32 v2, vcc, v10, v2
	v_addc_co_u32_e32 v2, vcc, v11, v3, vcc
	v_addc_co_u32_e32 v3, vcc, 0, v9, vcc
	v_add_co_u32_e32 v8, vcc, v2, v8
	v_addc_co_u32_e32 v9, vcc, 0, v3, vcc
	v_mul_lo_u32 v10, s25, v8
	v_mul_lo_u32 v11, s24, v9
	v_mad_u64_u32 v[2:3], s[0:1], s24, v8, 0
	v_add3_u32 v3, v3, v11, v10
	v_sub_u32_e32 v10, v7, v3
	v_mov_b32_e32 v11, s25
	v_sub_co_u32_e32 v2, vcc, v6, v2
	v_subb_co_u32_e64 v10, s[0:1], v10, v11, vcc
	v_subrev_co_u32_e64 v11, s[0:1], s24, v2
	v_subbrev_co_u32_e64 v10, s[0:1], 0, v10, s[0:1]
	v_cmp_le_u32_e64 s[0:1], s25, v10
	v_cndmask_b32_e64 v12, 0, -1, s[0:1]
	v_cmp_le_u32_e64 s[0:1], s24, v11
	v_cndmask_b32_e64 v11, 0, -1, s[0:1]
	v_cmp_eq_u32_e64 s[0:1], s25, v10
	v_cndmask_b32_e64 v10, v12, v11, s[0:1]
	v_add_co_u32_e64 v11, s[0:1], 2, v8
	v_addc_co_u32_e64 v12, s[0:1], 0, v9, s[0:1]
	v_add_co_u32_e64 v13, s[0:1], 1, v8
	v_addc_co_u32_e64 v14, s[0:1], 0, v9, s[0:1]
	v_subb_co_u32_e32 v3, vcc, v7, v3, vcc
	v_cmp_ne_u32_e64 s[0:1], 0, v10
	v_cmp_le_u32_e32 vcc, s25, v3
	v_cndmask_b32_e64 v10, v14, v12, s[0:1]
	v_cndmask_b32_e64 v12, 0, -1, vcc
	v_cmp_le_u32_e32 vcc, s24, v2
	v_cndmask_b32_e64 v2, 0, -1, vcc
	v_cmp_eq_u32_e32 vcc, s25, v3
	v_cndmask_b32_e32 v2, v12, v2, vcc
	v_cmp_ne_u32_e32 vcc, 0, v2
	v_cndmask_b32_e64 v2, v13, v11, s[0:1]
	v_cndmask_b32_e32 v99, v9, v10, vcc
	v_cndmask_b32_e32 v98, v8, v2, vcc
.LBB0_4:                                ;   in Loop: Header=BB0_2 Depth=1
	s_andn2_saveexec_b64 s[0:1], s[26:27]
	s_cbranch_execz .LBB0_6
; %bb.5:                                ;   in Loop: Header=BB0_2 Depth=1
	v_cvt_f32_u32_e32 v2, s24
	s_sub_i32 s26, 0, s24
	v_mov_b32_e32 v99, v1
	v_rcp_iflag_f32_e32 v2, v2
	v_mul_f32_e32 v2, 0x4f7ffffe, v2
	v_cvt_u32_f32_e32 v2, v2
	v_mul_lo_u32 v3, s26, v2
	v_mul_hi_u32 v3, v2, v3
	v_add_u32_e32 v2, v2, v3
	v_mul_hi_u32 v2, v6, v2
	v_mul_lo_u32 v3, v2, s24
	v_add_u32_e32 v8, 1, v2
	v_sub_u32_e32 v3, v6, v3
	v_subrev_u32_e32 v9, s24, v3
	v_cmp_le_u32_e32 vcc, s24, v3
	v_cndmask_b32_e32 v3, v3, v9, vcc
	v_cndmask_b32_e32 v2, v2, v8, vcc
	v_add_u32_e32 v8, 1, v2
	v_cmp_le_u32_e32 vcc, s24, v3
	v_cndmask_b32_e32 v98, v2, v8, vcc
.LBB0_6:                                ;   in Loop: Header=BB0_2 Depth=1
	s_or_b64 exec, exec, s[0:1]
	v_mul_lo_u32 v8, v99, s24
	v_mul_lo_u32 v9, v98, s25
	v_mad_u64_u32 v[2:3], s[0:1], v98, s24, 0
	s_load_dwordx2 s[0:1], s[6:7], 0x0
	s_load_dwordx2 s[24:25], s[2:3], 0x0
	v_add3_u32 v3, v3, v9, v8
	v_sub_co_u32_e32 v2, vcc, v6, v2
	v_subb_co_u32_e32 v3, vcc, v7, v3, vcc
	s_waitcnt lgkmcnt(0)
	v_mul_lo_u32 v6, s0, v3
	v_mul_lo_u32 v7, s1, v2
	v_mad_u64_u32 v[4:5], s[0:1], s0, v2, v[4:5]
	v_mul_lo_u32 v3, s24, v3
	v_mul_lo_u32 v8, s25, v2
	v_mad_u64_u32 v[96:97], s[0:1], s24, v2, v[96:97]
	s_add_u32 s22, s22, 1
	s_addc_u32 s23, s23, 0
	s_add_u32 s2, s2, 8
	v_add3_u32 v97, v8, v97, v3
	s_addc_u32 s3, s3, 0
	v_mov_b32_e32 v2, s14
	s_add_u32 s6, s6, 8
	v_mov_b32_e32 v3, s15
	s_addc_u32 s7, s7, 0
	v_cmp_ge_u64_e32 vcc, s[22:23], v[2:3]
	s_add_u32 s20, s20, 8
	v_add3_u32 v5, v7, v5, v6
	s_addc_u32 s21, s21, 0
	s_cbranch_vccnz .LBB0_9
; %bb.7:                                ;   in Loop: Header=BB0_2 Depth=1
	v_mov_b32_e32 v6, v98
	v_mov_b32_e32 v7, v99
	s_branch .LBB0_2
.LBB0_8:
	v_mov_b32_e32 v97, v5
	v_mov_b32_e32 v99, v7
	;; [unrolled: 1-line block ×4, first 2 shown]
.LBB0_9:
	s_load_dwordx2 s[0:1], s[4:5], 0x28
	s_lshl_b64 s[6:7], s[14:15], 3
	s_add_u32 s2, s18, s6
	s_addc_u32 s3, s19, s7
                                        ; implicit-def: $vgpr100
	s_waitcnt lgkmcnt(0)
	v_cmp_gt_u64_e32 vcc, s[0:1], v[98:99]
	v_cmp_le_u64_e64 s[0:1], s[0:1], v[98:99]
	s_and_saveexec_b64 s[4:5], s[0:1]
	s_xor_b64 s[0:1], exec, s[4:5]
; %bb.10:
	s_mov_b32 s4, 0x1c71c72
	v_mul_hi_u32 v1, v0, s4
                                        ; implicit-def: $vgpr4_vgpr5
	v_mul_u32_u24_e32 v1, 0x90, v1
	v_sub_u32_e32 v100, v0, v1
                                        ; implicit-def: $vgpr0
; %bb.11:
	s_or_saveexec_b64 s[4:5], s[0:1]
                                        ; implicit-def: $vgpr50_vgpr51
                                        ; implicit-def: $vgpr86_vgpr87
                                        ; implicit-def: $vgpr74_vgpr75
                                        ; implicit-def: $vgpr30_vgpr31
                                        ; implicit-def: $vgpr78_vgpr79
                                        ; implicit-def: $vgpr82_vgpr83
                                        ; implicit-def: $vgpr42_vgpr43
                                        ; implicit-def: $vgpr26_vgpr27
                                        ; implicit-def: $vgpr58_vgpr59
                                        ; implicit-def: $vgpr6_vgpr7
                                        ; implicit-def: $vgpr14_vgpr15
                                        ; implicit-def: $vgpr22_vgpr23
                                        ; implicit-def: $vgpr18_vgpr19
                                        ; implicit-def: $vgpr10_vgpr11
                                        ; implicit-def: $vgpr2_vgpr3
                                        ; implicit-def: $vgpr62_vgpr63
                                        ; implicit-def: $vgpr46_vgpr47
                                        ; implicit-def: $vgpr66_vgpr67
                                        ; implicit-def: $vgpr38_vgpr39
                                        ; implicit-def: $vgpr70_vgpr71
                                        ; implicit-def: $vgpr34_vgpr35
                                        ; implicit-def: $vgpr94_vgpr95
                                        ; implicit-def: $vgpr90_vgpr91
                                        ; implicit-def: $vgpr54_vgpr55
	s_xor_b64 exec, exec, s[4:5]
	s_cbranch_execz .LBB0_13
; %bb.12:
	s_add_u32 s0, s16, s6
	s_addc_u32 s1, s17, s7
	s_load_dwordx2 s[0:1], s[0:1], 0x0
	s_mov_b32 s6, 0x1c71c72
	v_mul_hi_u32 v3, v0, s6
	s_mov_b32 s6, 0x9000
	s_waitcnt lgkmcnt(0)
	v_mul_lo_u32 v6, s1, v98
	v_mul_lo_u32 v7, s0, v99
	v_mad_u64_u32 v[1:2], s[0:1], s0, v98, 0
	v_mul_u32_u24_e32 v3, 0x90, v3
	v_sub_u32_e32 v100, v0, v3
	v_add3_u32 v2, v2, v7, v6
	v_lshlrev_b64 v[0:1], 4, v[1:2]
	v_mov_b32_e32 v2, s9
	v_add_co_u32_e64 v3, s[0:1], s8, v0
	v_addc_co_u32_e64 v2, s[0:1], v2, v1, s[0:1]
	v_lshlrev_b64 v[0:1], 4, v[4:5]
	v_lshlrev_b32_e32 v6, 4, v100
	v_add_co_u32_e64 v4, s[0:1], v3, v0
	v_addc_co_u32_e64 v5, s[0:1], v2, v1, s[0:1]
	v_add_co_u32_e64 v0, s[0:1], v4, v6
	v_addc_co_u32_e64 v1, s[0:1], 0, v5, s[0:1]
	s_movk_i32 s0, 0x2000
	v_add_co_u32_e64 v2, s[0:1], s0, v0
	v_addc_co_u32_e64 v3, s[0:1], 0, v1, s[0:1]
	s_movk_i32 s0, 0x4000
	;; [unrolled: 3-line block ×3, first 2 shown]
	v_add_co_u32_e64 v18, s[0:1], s0, v0
	v_addc_co_u32_e64 v19, s[0:1], 0, v1, s[0:1]
	v_or_b32_e32 v6, 0x9000, v6
	v_add_co_u32_e64 v101, s[0:1], v4, v6
	v_addc_co_u32_e64 v102, s[0:1], 0, v5, s[0:1]
	s_mov_b32 s0, 0xb000
	v_add_co_u32_e64 v4, s[0:1], s0, v0
	v_addc_co_u32_e64 v5, s[0:1], 0, v1, s[0:1]
	s_movk_i32 s0, 0x5000
	global_load_dwordx4 v[52:55], v[0:1], off
	global_load_dwordx4 v[28:31], v[0:1], off offset:2304
	global_load_dwordx4 v[48:51], v[2:3], off offset:1024
	;; [unrolled: 1-line block ×3, first 2 shown]
	v_add_co_u32_e64 v2, s[0:1], s0, v0
	v_addc_co_u32_e64 v3, s[0:1], 0, v1, s[0:1]
	s_movk_i32 s0, 0x7000
	v_add_co_u32_e64 v103, s[0:1], s0, v0
	v_addc_co_u32_e64 v104, s[0:1], 0, v1, s[0:1]
	v_add_co_u32_e64 v105, s[0:1], s6, v0
	v_addc_co_u32_e64 v106, s[0:1], 0, v1, s[0:1]
	s_movk_i32 s0, 0x1000
	v_add_co_u32_e64 v107, s[0:1], s0, v0
	v_addc_co_u32_e64 v108, s[0:1], 0, v1, s[0:1]
	s_movk_i32 s0, 0x3000
	v_add_co_u32_e64 v109, s[0:1], s0, v0
	v_addc_co_u32_e64 v110, s[0:1], 0, v1, s[0:1]
	s_mov_b32 s0, 0xa000
	v_add_co_u32_e64 v111, s[0:1], s0, v0
	v_addc_co_u32_e64 v112, s[0:1], 0, v1, s[0:1]
	s_mov_b32 s0, 0xc000
	;; [unrolled: 3-line block ×3, first 2 shown]
	v_add_co_u32_e64 v115, s[0:1], s0, v0
	global_load_dwordx4 v[72:75], v[4:5], off offset:1024
	global_load_dwordx4 v[36:39], v[4:5], off offset:3328
	;; [unrolled: 1-line block ×4, first 2 shown]
	v_addc_co_u32_e64 v116, s[0:1], 0, v1, s[0:1]
	global_load_dwordx4 v[76:79], v[103:104], off offset:1280
	global_load_dwordx4 v[44:47], v[103:104], off offset:3584
	global_load_dwordx4 v[80:83], v[105:106], off offset:2304
	global_load_dwordx4 v[64:67], v[107:108], off offset:512
	global_load_dwordx4 v[4:7], v[107:108], off offset:2816
	global_load_dwordx4 v[40:43], v[109:110], off offset:1536
	global_load_dwordx4 v[92:95], v[101:102], off
	global_load_dwordx4 v[88:91], v[18:19], off offset:3072
	global_load_dwordx4 v[84:87], v[16:17], off offset:2048
	global_load_dwordx4 v[8:11], v[18:19], off offset:768
	global_load_dwordx4 v[0:3], v[109:110], off offset:3840
	global_load_dwordx4 v[60:63], v[111:112], off offset:512
	global_load_dwordx4 v[20:23], v[111:112], off offset:2816
	global_load_dwordx4 v[56:59], v[113:114], off offset:1536
	global_load_dwordx4 v[12:15], v[115:116], off offset:1792
                                        ; kill: killed $vgpr109 killed $vgpr110
                                        ; kill: killed $vgpr107 killed $vgpr108
                                        ; kill: killed $vgpr101 killed $vgpr102
                                        ; kill: killed $vgpr105 killed $vgpr106
                                        ; kill: killed $vgpr115 killed $vgpr116
                                        ; kill: killed $vgpr18 killed $vgpr19
                                        ; kill: killed $vgpr16 killed $vgpr17
                                        ; kill: killed $vgpr103 killed $vgpr104
                                        ; kill: killed $vgpr111 killed $vgpr112
	global_load_dwordx4 v[16:19], v[113:114], off offset:3840
.LBB0_13:
	s_or_b64 exec, exec, s[4:5]
	s_waitcnt vmcnt(7)
	v_add_f64 v[101:102], v[84:85], v[92:93]
	v_add_f64 v[107:108], v[72:73], v[88:89]
	;; [unrolled: 1-line block ×3, first 2 shown]
	v_add_f64 v[105:106], v[86:87], -v[94:95]
	v_add_f64 v[109:110], v[74:75], v[90:91]
	v_add_f64 v[111:112], v[90:91], -v[74:75]
	s_mov_b32 s4, 0xe8584caa
	s_mov_b32 s5, 0x3febb67a
	v_fma_f64 v[52:53], v[101:102], -0.5, v[52:53]
	v_fma_f64 v[107:108], v[107:108], -0.5, v[48:49]
	s_mov_b32 s1, 0xbfebb67a
	s_mov_b32 s0, s4
	v_add_f64 v[101:102], v[86:87], v[54:55]
	v_add_f64 v[86:87], v[86:87], v[94:95]
	v_add_f64 v[113:114], v[88:89], -v[72:73]
	v_fma_f64 v[109:110], v[109:110], -0.5, v[50:51]
	v_fma_f64 v[115:116], v[105:106], s[4:5], v[52:53]
	v_fma_f64 v[105:106], v[105:106], s[0:1], v[52:53]
	;; [unrolled: 1-line block ×4, first 2 shown]
	v_add_f64 v[48:49], v[48:49], v[88:89]
	v_add_f64 v[103:104], v[92:93], v[103:104]
	;; [unrolled: 1-line block ×3, first 2 shown]
	v_fma_f64 v[54:55], v[86:87], -0.5, v[54:55]
	v_fma_f64 v[86:87], v[113:114], s[4:5], v[109:110]
	v_add_f64 v[84:85], v[84:85], -v[92:93]
	v_fma_f64 v[88:89], v[113:114], s[0:1], v[109:110]
	v_mul_f64 v[92:93], v[52:53], 0.5
	v_mul_f64 v[101:102], v[107:108], -0.5
	v_add_f64 v[50:51], v[50:51], v[90:91]
	v_add_f64 v[113:114], v[72:73], v[48:49]
	v_mul_f64 v[52:53], v[52:53], s[0:1]
	v_mul_f64 v[90:91], v[86:87], -0.5
	v_add_f64 v[119:120], v[80:81], v[68:69]
	v_fma_f64 v[109:110], v[84:85], s[0:1], v[54:55]
	v_fma_f64 v[92:93], v[88:89], s[4:5], v[92:93]
	;; [unrolled: 1-line block ×3, first 2 shown]
	v_add_f64 v[50:51], v[74:75], v[50:51]
	v_add_f64 v[72:73], v[113:114], v[103:104]
	v_add_f64 v[86:87], v[103:104], -v[113:114]
	v_add_f64 v[103:104], v[76:77], v[36:37]
	v_fma_f64 v[111:112], v[84:85], s[4:5], v[54:55]
	v_fma_f64 v[117:118], v[88:89], 0.5, v[52:53]
	v_fma_f64 v[107:108], v[107:108], s[0:1], v[90:91]
	v_add_f64 v[74:75], v[115:116], v[92:93]
	v_add_f64 v[84:85], v[105:106], v[101:102]
	v_add_f64 v[52:53], v[50:51], v[94:95]
	v_add_f64 v[88:89], v[115:116], -v[92:93]
	v_add_f64 v[90:91], v[105:106], -v[101:102]
	;; [unrolled: 1-line block ×3, first 2 shown]
	v_add_f64 v[92:93], v[78:79], v[38:39]
	v_add_f64 v[94:95], v[28:29], v[68:69]
	v_fma_f64 v[28:29], v[119:120], -0.5, v[28:29]
	v_add_f64 v[101:102], v[70:71], -v[82:83]
	v_fma_f64 v[103:104], v[103:104], -0.5, v[32:33]
	v_add_f64 v[105:106], v[78:79], -v[38:39]
	v_add_f64 v[113:114], v[30:31], v[70:71]
	v_add_f64 v[70:71], v[82:83], v[70:71]
	v_fma_f64 v[92:93], v[92:93], -0.5, v[34:35]
	v_add_f64 v[115:116], v[76:77], -v[36:37]
	v_add_f64 v[32:33], v[76:77], v[32:33]
	v_fma_f64 v[119:120], v[101:102], s[4:5], v[28:29]
	v_fma_f64 v[101:102], v[101:102], s[0:1], v[28:29]
	;; [unrolled: 1-line block ×4, first 2 shown]
	v_add_f64 v[94:95], v[80:81], v[94:95]
	v_fma_f64 v[30:31], v[70:71], -0.5, v[30:31]
	v_fma_f64 v[70:71], v[115:116], s[4:5], v[92:93]
	v_add_f64 v[68:69], v[68:69], -v[80:81]
	v_fma_f64 v[76:77], v[115:116], s[0:1], v[92:93]
	v_add_f64 v[34:35], v[78:79], v[34:35]
	v_mul_f64 v[80:81], v[28:29], 0.5
	v_mul_f64 v[92:93], v[103:104], -0.5
	v_mul_f64 v[28:29], v[28:29], s[0:1]
	v_add_f64 v[36:37], v[36:37], v[32:33]
	v_add_f64 v[48:49], v[111:112], v[107:108]
	v_mul_f64 v[78:79], v[70:71], -0.5
	v_add_f64 v[54:55], v[109:110], v[117:118]
	v_add_f64 v[121:122], v[38:39], v[34:35]
	;; [unrolled: 1-line block ×3, first 2 shown]
	v_fma_f64 v[92:93], v[70:71], s[4:5], v[92:93]
	v_fma_f64 v[123:124], v[76:77], 0.5, v[28:29]
	v_add_f64 v[70:71], v[111:112], -v[107:108]
	v_add_f64 v[28:29], v[94:95], v[36:37]
	s_waitcnt vmcnt(4)
	v_add_f64 v[107:108], v[24:25], v[60:61]
	v_add_f64 v[34:35], v[94:95], -v[36:37]
	s_waitcnt vmcnt(2)
	v_add_f64 v[94:95], v[56:57], v[44:45]
	v_fma_f64 v[105:106], v[68:69], s[0:1], v[30:31]
	v_fma_f64 v[113:114], v[68:69], s[4:5], v[30:31]
	;; [unrolled: 1-line block ×3, first 2 shown]
	v_add_f64 v[68:69], v[109:110], -v[117:118]
	v_add_f64 v[32:33], v[101:102], v[92:93]
	v_add_f64 v[38:39], v[101:102], -v[92:93]
	v_add_f64 v[92:93], v[58:59], v[46:47]
	v_add_f64 v[101:102], v[24:25], v[64:65]
	v_fma_f64 v[64:65], v[107:108], -0.5, v[64:65]
	v_add_f64 v[107:108], v[26:27], -v[62:63]
	v_fma_f64 v[94:95], v[94:95], -0.5, v[40:41]
	v_add_f64 v[109:110], v[46:47], -v[58:59]
	v_add_f64 v[30:31], v[119:120], v[115:116]
	v_add_f64 v[36:37], v[119:120], -v[115:116]
	v_add_f64 v[111:112], v[26:27], v[66:67]
	v_add_f64 v[26:27], v[26:27], v[62:63]
	v_fma_f64 v[92:93], v[92:93], -0.5, v[42:43]
	v_add_f64 v[115:116], v[44:45], -v[56:57]
	v_fma_f64 v[117:118], v[107:108], s[4:5], v[64:65]
	v_fma_f64 v[107:108], v[107:108], s[0:1], v[64:65]
	;; [unrolled: 1-line block ×4, first 2 shown]
	v_add_f64 v[40:41], v[40:41], v[44:45]
	v_fma_f64 v[103:104], v[103:104], s[0:1], v[78:79]
	v_add_f64 v[101:102], v[60:61], v[101:102]
	v_add_f64 v[109:110], v[62:63], v[111:112]
	v_fma_f64 v[26:27], v[26:27], -0.5, v[66:67]
	v_fma_f64 v[62:63], v[115:116], s[4:5], v[92:93]
	v_add_f64 v[24:25], v[24:25], -v[60:61]
	v_fma_f64 v[44:45], v[115:116], s[0:1], v[92:93]
	v_mul_f64 v[66:67], v[94:95], -0.5
	v_add_f64 v[42:43], v[42:43], v[46:47]
	v_add_f64 v[115:116], v[56:57], v[40:41]
	;; [unrolled: 1-line block ×4, first 2 shown]
	v_add_f64 v[82:83], v[82:83], -v[121:122]
	v_mul_f64 v[60:61], v[64:65], 0.5
	v_mul_f64 v[46:47], v[64:65], s[0:1]
	v_fma_f64 v[92:93], v[24:25], s[0:1], v[26:27]
	v_fma_f64 v[111:112], v[24:25], s[4:5], v[26:27]
	;; [unrolled: 1-line block ×3, first 2 shown]
	v_add_f64 v[121:122], v[58:59], v[42:43]
	v_add_f64 v[58:59], v[113:114], -v[103:104]
	v_add_f64 v[24:25], v[115:116], v[101:102]
	v_add_f64 v[103:104], v[20:21], v[8:9]
	v_add_f64 v[42:43], v[101:102], -v[115:116]
	s_waitcnt vmcnt(0)
	v_add_f64 v[101:102], v[12:13], v[16:17]
	v_add_f64 v[78:79], v[105:106], v[123:124]
	v_add_f64 v[56:57], v[105:106], -v[123:124]
	v_add_f64 v[105:106], v[14:15], v[18:19]
	v_fma_f64 v[119:120], v[44:45], s[4:5], v[60:61]
	v_fma_f64 v[125:126], v[44:45], 0.5, v[46:47]
	v_add_f64 v[40:41], v[107:108], v[66:67]
	v_add_f64 v[60:61], v[121:122], v[109:110]
	v_add_f64 v[46:47], v[107:108], -v[66:67]
	v_add_f64 v[66:67], v[109:110], -v[121:122]
	v_add_f64 v[107:108], v[4:5], v[8:9]
	v_fma_f64 v[4:5], v[103:104], -0.5, v[4:5]
	v_add_f64 v[103:104], v[10:11], -v[22:23]
	v_fma_f64 v[101:102], v[101:102], -0.5, v[0:1]
	v_add_f64 v[109:110], v[14:15], -v[18:19]
	v_add_f64 v[113:114], v[6:7], v[10:11]
	v_add_f64 v[10:11], v[22:23], v[10:11]
	v_fma_f64 v[105:106], v[105:106], -0.5, v[2:3]
	v_add_f64 v[115:116], v[12:13], -v[16:17]
	v_add_f64 v[107:108], v[20:21], v[107:108]
	v_fma_f64 v[121:122], v[103:104], s[4:5], v[4:5]
	v_fma_f64 v[103:104], v[103:104], s[0:1], v[4:5]
	;; [unrolled: 1-line block ×4, first 2 shown]
	v_fma_f64 v[6:7], v[10:11], -0.5, v[6:7]
	v_add_f64 v[8:9], v[8:9], -v[20:21]
	v_fma_f64 v[10:11], v[115:116], s[4:5], v[105:106]
	v_add_f64 v[0:1], v[12:13], v[0:1]
	v_fma_f64 v[12:13], v[115:116], s[0:1], v[105:106]
	v_add_f64 v[2:3], v[14:15], v[2:3]
	v_mul_f64 v[20:21], v[4:5], 0.5
	v_mul_f64 v[4:5], v[4:5], s[0:1]
	v_mul_f64 v[64:65], v[62:63], -0.5
	v_mul_f64 v[105:106], v[101:102], -0.5
	;; [unrolled: 1-line block ×3, first 2 shown]
	v_add_f64 v[22:23], v[22:23], v[113:114]
	v_fma_f64 v[109:110], v[8:9], s[0:1], v[6:7]
	v_fma_f64 v[113:114], v[8:9], s[4:5], v[6:7]
	;; [unrolled: 1-line block ×3, first 2 shown]
	v_fma_f64 v[12:13], v[12:13], 0.5, v[4:5]
	v_add_f64 v[6:7], v[16:17], v[0:1]
	v_fma_f64 v[94:95], v[94:95], s[0:1], v[64:65]
	v_fma_f64 v[14:15], v[101:102], s[0:1], v[14:15]
	;; [unrolled: 1-line block ×3, first 2 shown]
	v_add_f64 v[16:17], v[18:19], v[2:3]
	v_add_f64 v[26:27], v[117:118], v[119:120]
	v_add_f64 v[44:45], v[117:118], -v[119:120]
	v_add_f64 v[117:118], v[109:110], v[12:13]
	v_add_f64 v[123:124], v[109:110], -v[12:13]
	v_mul_u32_u24_e32 v12, 6, v100
	v_add_f64 v[62:63], v[92:93], v[125:126]
	v_add_f64 v[92:93], v[92:93], -v[125:126]
	v_add_f64 v[119:120], v[113:114], v[14:15]
	v_add_f64 v[125:126], v[113:114], -v[14:15]
	v_lshl_add_u32 v113, v12, 3, 0
	s_movk_i32 s6, 0xffd8
	v_add_f64 v[0:1], v[107:108], v[6:7]
	v_add_f64 v[2:3], v[121:122], v[8:9]
	v_mad_i32_i24 v101, v100, s6, v113
	v_add_f64 v[64:65], v[111:112], v[94:95]
	v_add_f64 v[94:95], v[111:112], -v[94:95]
	v_add_f64 v[4:5], v[103:104], v[10:11]
	v_add_f64 v[6:7], v[107:108], -v[6:7]
	v_add_f64 v[8:9], v[121:122], -v[8:9]
	;; [unrolled: 1-line block ×3, first 2 shown]
	v_add_u32_e32 v114, 0x1000, v101
	v_add_u32_e32 v106, 0x2400, v101
	;; [unrolled: 1-line block ×11, first 2 shown]
	s_movk_i32 s6, 0xab
	s_load_dwordx2 s[2:3], s[2:3], 0x0
	v_add_f64 v[115:116], v[22:23], v[16:17]
	v_add_f64 v[121:122], v[22:23], -v[16:17]
	ds_write_b128 v113, v[72:75]
	ds_write_b128 v113, v[84:87] offset:16
	ds_write_b128 v113, v[88:91] offset:32
	;; [unrolled: 1-line block ×11, first 2 shown]
	s_waitcnt lgkmcnt(0)
	s_barrier
	ds_read2_b64 v[4:7], v101 offset1:144
	ds_read2_b64 v[44:47], v114 offset0:64 offset1:208
	ds_read2_b64 v[40:43], v106 offset1:144
	ds_read2_b64 v[36:39], v103 offset0:64 offset1:208
	;; [unrolled: 2-line block ×3, first 2 shown]
	ds_read2_b64 v[0:3], v105 offset0:32 offset1:176
	ds_read2_b64 v[24:27], v102 offset0:96 offset1:240
	;; [unrolled: 1-line block ×6, first 2 shown]
	s_waitcnt lgkmcnt(0)
	s_barrier
	ds_write_b128 v113, v[52:55]
	ds_write_b128 v113, v[48:51] offset:16
	ds_write_b128 v113, v[68:71] offset:32
	;; [unrolled: 1-line block ×11, first 2 shown]
	v_mul_lo_u16_sdwa v48, v100, s6 dst_sel:DWORD dst_unused:UNUSED_PAD src0_sel:BYTE_0 src1_sel:DWORD
	v_lshrrev_b16_e32 v117, 10, v48
	v_mul_lo_u16_e32 v48, 6, v117
	v_sub_u16_e32 v118, v100, v48
	v_mov_b32_e32 v116, 5
	v_mul_u32_u24_sdwa v48, v118, v116 dst_sel:DWORD dst_unused:UNUSED_PAD src0_sel:BYTE_0 src1_sel:DWORD
	v_lshlrev_b32_e32 v80, 4, v48
	s_waitcnt lgkmcnt(0)
	s_barrier
	global_load_dwordx4 v[48:51], v80, s[12:13] offset:16
	global_load_dwordx4 v[52:55], v80, s[12:13]
	v_add_u32_e32 v112, 0x90, v100
	s_mov_b32 s6, 0xaaab
	v_mul_u32_u24_sdwa v56, v112, s6 dst_sel:DWORD dst_unused:UNUSED_PAD src0_sel:WORD_0 src1_sel:DWORD
	v_lshrrev_b32_e32 v119, 18, v56
	v_mul_lo_u16_e32 v56, 6, v119
	v_sub_u16_e32 v120, v112, v56
	v_mul_u32_u24_e32 v56, 5, v120
	v_lshlrev_b32_e32 v88, 4, v56
	global_load_dwordx4 v[56:59], v88, s[12:13]
	global_load_dwordx4 v[60:63], v88, s[12:13] offset:16
	global_load_dwordx4 v[64:67], v80, s[12:13] offset:32
	global_load_dwordx4 v[68:71], v88, s[12:13] offset:32
	global_load_dwordx4 v[72:75], v80, s[12:13] offset:48
	global_load_dwordx4 v[76:79], v80, s[12:13] offset:64
	v_add_u32_e32 v115, 0x120, v100
	global_load_dwordx4 v[80:83], v88, s[12:13] offset:48
	global_load_dwordx4 v[84:87], v88, s[12:13] offset:64
	v_mul_u32_u24_sdwa v88, v115, s6 dst_sel:DWORD dst_unused:UNUSED_PAD src0_sel:WORD_0 src1_sel:DWORD
	v_lshrrev_b32_e32 v121, 18, v88
	v_mul_lo_u16_e32 v88, 6, v121
	v_sub_u16_e32 v122, v115, v88
	v_add_u32_e32 v113, 0x1b0, v100
	v_mul_u32_u24_e32 v88, 5, v122
	v_lshlrev_b32_e32 v157, 4, v88
	v_mul_u32_u24_sdwa v88, v113, s6 dst_sel:DWORD dst_unused:UNUSED_PAD src0_sel:WORD_0 src1_sel:DWORD
	v_lshrrev_b32_e32 v123, 18, v88
	global_load_dwordx4 v[88:91], v157, s[12:13]
	v_mul_lo_u16_e32 v92, 6, v123
	v_sub_u16_e32 v124, v113, v92
	v_mul_u32_u24_e32 v92, 5, v124
	v_lshlrev_b32_e32 v161, 4, v92
	global_load_dwordx4 v[92:95], v161, s[12:13]
	global_load_dwordx4 v[125:128], v157, s[12:13] offset:16
	global_load_dwordx4 v[129:132], v161, s[12:13] offset:16
	;; [unrolled: 1-line block ×6, first 2 shown]
	ds_read2_b64 v[145:148], v114 offset0:64 offset1:208
	global_load_dwordx4 v[157:160], v157, s[12:13] offset:64
	ds_read2_b64 v[153:156], v106 offset1:144
	global_load_dwordx4 v[161:164], v161, s[12:13] offset:64
	s_mov_b32 s6, 0xe38f
	s_waitcnt vmcnt(19) lgkmcnt(0)
	v_mul_f64 v[167:168], v[153:154], v[50:51]
	s_waitcnt vmcnt(18)
	v_mul_f64 v[165:166], v[145:146], v[54:55]
	v_mul_f64 v[54:55], v[44:45], v[54:55]
	s_waitcnt vmcnt(17)
	v_mul_f64 v[169:170], v[147:148], v[58:59]
	v_mul_f64 v[58:59], v[46:47], v[58:59]
	v_fma_f64 v[165:166], v[44:45], v[52:53], -v[165:166]
	v_fma_f64 v[54:55], v[145:146], v[52:53], v[54:55]
	v_mul_f64 v[44:45], v[40:41], v[50:51]
	ds_read2_b64 v[50:53], v103 offset0:64 offset1:208
	v_fma_f64 v[145:146], v[40:41], v[48:49], -v[167:168]
	s_waitcnt vmcnt(16)
	v_mul_f64 v[40:41], v[155:156], v[62:63]
	v_fma_f64 v[167:168], v[46:47], v[56:57], -v[169:170]
	v_fma_f64 v[56:57], v[147:148], v[56:57], v[58:59]
	v_mul_f64 v[58:59], v[42:43], v[62:63]
	s_waitcnt vmcnt(15) lgkmcnt(0)
	v_mul_f64 v[62:63], v[50:51], v[66:67]
	v_fma_f64 v[48:49], v[153:154], v[48:49], v[44:45]
	v_mul_f64 v[66:67], v[36:37], v[66:67]
	s_waitcnt vmcnt(14)
	v_mul_f64 v[147:148], v[52:53], v[70:71]
	ds_read2_b64 v[44:47], v109 offset1:144
	v_fma_f64 v[153:154], v[42:43], v[60:61], -v[40:41]
	v_mul_f64 v[40:41], v[38:39], v[70:71]
	v_fma_f64 v[60:61], v[155:156], v[60:61], v[58:59]
	v_fma_f64 v[58:59], v[36:37], v[64:65], -v[62:63]
	s_waitcnt vmcnt(13) lgkmcnt(0)
	v_mul_f64 v[42:43], v[44:45], v[74:75]
	v_mul_f64 v[62:63], v[32:33], v[74:75]
	v_fma_f64 v[50:51], v[50:51], v[64:65], v[66:67]
	v_fma_f64 v[64:65], v[38:39], v[68:69], -v[147:148]
	ds_read2_b64 v[36:39], v107 offset0:64 offset1:208
	v_fma_f64 v[66:67], v[52:53], v[68:69], v[40:41]
	s_waitcnt vmcnt(11)
	v_mul_f64 v[68:69], v[34:35], v[82:83]
	v_mul_f64 v[52:53], v[46:47], v[82:83]
	v_fma_f64 v[70:71], v[32:33], v[72:73], -v[42:43]
	s_waitcnt lgkmcnt(0)
	v_mul_f64 v[32:33], v[36:37], v[78:79]
	v_fma_f64 v[44:45], v[44:45], v[72:73], v[62:63]
	v_mul_f64 v[62:63], v[28:29], v[78:79]
	s_waitcnt vmcnt(10)
	v_mul_f64 v[72:73], v[38:39], v[86:87]
	ds_read2_b64 v[40:43], v102 offset0:96 offset1:240
	v_fma_f64 v[46:47], v[46:47], v[80:81], v[68:69]
	s_waitcnt vmcnt(9)
	v_mul_f64 v[68:69], v[24:25], v[90:91]
	v_fma_f64 v[74:75], v[34:35], v[80:81], -v[52:53]
	v_mul_f64 v[34:35], v[30:31], v[86:87]
	v_fma_f64 v[52:53], v[28:29], v[76:77], -v[32:33]
	v_fma_f64 v[36:37], v[36:37], v[76:77], v[62:63]
	v_fma_f64 v[62:63], v[30:31], v[84:85], -v[72:73]
	s_waitcnt vmcnt(8) lgkmcnt(0)
	v_mul_f64 v[72:73], v[42:43], v[94:95]
	ds_read2_b64 v[28:31], v110 offset0:32 offset1:176
	v_mul_f64 v[32:33], v[40:41], v[90:91]
	v_mul_f64 v[76:77], v[26:27], v[94:95]
	v_fma_f64 v[40:41], v[40:41], v[88:89], v[68:69]
	s_waitcnt vmcnt(7)
	v_mul_f64 v[78:79], v[20:21], v[127:128]
	s_waitcnt lgkmcnt(0)
	v_mul_f64 v[68:69], v[28:29], v[127:128]
	v_fma_f64 v[38:39], v[38:39], v[84:85], v[34:35]
	v_fma_f64 v[26:27], v[26:27], v[92:93], -v[72:73]
	s_waitcnt vmcnt(6)
	v_mul_f64 v[72:73], v[30:31], v[131:132]
	v_fma_f64 v[24:25], v[24:25], v[88:89], -v[32:33]
	ds_read2_b64 v[32:35], v108 offset0:96 offset1:240
	v_fma_f64 v[42:43], v[42:43], v[92:93], v[76:77]
	v_mul_f64 v[76:77], v[22:23], v[131:132]
	v_fma_f64 v[82:83], v[20:21], v[125:126], -v[68:69]
	s_waitcnt vmcnt(5)
	v_mul_f64 v[68:69], v[16:17], v[135:136]
	s_waitcnt lgkmcnt(0)
	v_mul_f64 v[80:81], v[32:33], v[135:136]
	v_fma_f64 v[28:29], v[28:29], v[125:126], v[78:79]
	s_waitcnt vmcnt(4)
	v_mul_f64 v[78:79], v[34:35], v[139:140]
	v_fma_f64 v[84:85], v[22:23], v[129:130], -v[72:73]
	ds_read2_b64 v[20:23], v104 offset0:32 offset1:176
	v_fma_f64 v[30:31], v[30:31], v[129:130], v[76:77]
	v_mul_f64 v[76:77], v[18:19], v[139:140]
	v_fma_f64 v[32:33], v[32:33], v[133:134], v[68:69]
	v_fma_f64 v[72:73], v[16:17], v[133:134], -v[80:81]
	s_waitcnt vmcnt(3) lgkmcnt(0)
	v_mul_f64 v[68:69], v[20:21], v[143:144]
	v_fma_f64 v[86:87], v[18:19], v[137:138], -v[78:79]
	ds_read2_b64 v[16:19], v111 offset0:96 offset1:240
	v_mul_f64 v[78:79], v[12:13], v[143:144]
	s_waitcnt vmcnt(2)
	v_mul_f64 v[80:81], v[22:23], v[151:152]
	v_mul_f64 v[88:89], v[14:15], v[151:152]
	v_fma_f64 v[34:35], v[34:35], v[137:138], v[76:77]
	s_waitcnt vmcnt(1) lgkmcnt(0)
	v_mul_f64 v[76:77], v[16:17], v[159:160]
	v_fma_f64 v[90:91], v[12:13], v[141:142], -v[68:69]
	v_mul_f64 v[12:13], v[8:9], v[159:160]
	s_waitcnt vmcnt(0)
	v_mul_f64 v[68:69], v[18:19], v[163:164]
	v_fma_f64 v[78:79], v[20:21], v[141:142], v[78:79]
	v_fma_f64 v[92:93], v[14:15], v[149:150], -v[80:81]
	v_fma_f64 v[22:23], v[22:23], v[149:150], v[88:89]
	v_add_f64 v[14:15], v[145:146], v[70:71]
	v_fma_f64 v[76:77], v[8:9], v[157:158], -v[76:77]
	v_mul_f64 v[8:9], v[10:11], v[163:164]
	v_fma_f64 v[80:81], v[16:17], v[157:158], v[12:13]
	v_fma_f64 v[88:89], v[10:11], v[161:162], -v[68:69]
	v_add_f64 v[10:11], v[50:51], v[36:37]
	v_add_f64 v[12:13], v[58:59], v[52:53]
	;; [unrolled: 1-line block ×3, first 2 shown]
	v_fma_f64 v[4:5], v[14:15], -0.5, v[4:5]
	v_add_f64 v[14:15], v[48:49], -v[44:45]
	v_fma_f64 v[94:95], v[18:19], v[161:162], v[8:9]
	v_add_f64 v[8:9], v[58:59], -v[52:53]
	v_add_f64 v[68:69], v[50:51], -v[36:37]
	v_fma_f64 v[10:11], v[10:11], -0.5, v[54:55]
	v_fma_f64 v[12:13], v[12:13], -0.5, v[165:166]
	v_add_f64 v[127:128], v[48:49], v[44:45]
	ds_read2_b64 v[16:19], v101 offset1:144
	v_add_f64 v[20:21], v[20:21], v[70:71]
	v_fma_f64 v[125:126], v[14:15], s[4:5], v[4:5]
	v_fma_f64 v[129:130], v[14:15], s[0:1], v[4:5]
	v_add_f64 v[50:51], v[54:55], v[50:51]
	s_waitcnt lgkmcnt(0)
	v_add_f64 v[4:5], v[16:17], v[48:49]
	v_fma_f64 v[14:15], v[8:9], s[0:1], v[10:11]
	v_add_f64 v[48:49], v[145:146], -v[70:71]
	v_fma_f64 v[70:71], v[68:69], s[4:5], v[12:13]
	v_fma_f64 v[12:13], v[68:69], s[0:1], v[12:13]
	v_fma_f64 v[8:9], v[8:9], s[4:5], v[10:11]
	v_fma_f64 v[10:11], v[127:128], -0.5, v[16:17]
	v_add_f64 v[16:17], v[165:166], v[58:59]
	v_add_f64 v[44:45], v[4:5], v[44:45]
	v_mul_f64 v[4:5], v[14:15], s[4:5]
	v_add_f64 v[36:37], v[50:51], v[36:37]
	v_mul_f64 v[54:55], v[70:71], s[0:1]
	v_mul_f64 v[58:59], v[12:13], -0.5
	v_mul_f64 v[68:69], v[8:9], -0.5
	v_fma_f64 v[127:128], v[48:49], s[0:1], v[10:11]
	v_add_f64 v[16:17], v[16:17], v[52:53]
	v_add_f64 v[52:53], v[153:154], v[74:75]
	v_fma_f64 v[131:132], v[48:49], s[4:5], v[10:11]
	v_fma_f64 v[10:11], v[70:71], 0.5, v[4:5]
	v_fma_f64 v[50:51], v[14:15], 0.5, v[54:55]
	v_fma_f64 v[48:49], v[8:9], s[4:5], v[58:59]
	v_fma_f64 v[54:55], v[12:13], s[0:1], v[68:69]
	v_add_f64 v[70:71], v[64:65], v[62:63]
	v_add_f64 v[14:15], v[20:21], v[16:17]
	v_fma_f64 v[68:69], v[52:53], -0.5, v[6:7]
	v_add_f64 v[52:53], v[66:67], v[38:39]
	v_add_f64 v[4:5], v[20:21], -v[16:17]
	v_add_f64 v[16:17], v[125:126], v[10:11]
	v_add_f64 v[20:21], v[60:61], v[46:47]
	v_add_f64 v[8:9], v[125:126], -v[10:11]
	v_add_f64 v[12:13], v[129:130], v[48:49]
	v_add_f64 v[10:11], v[129:130], -v[48:49]
	v_add_f64 v[6:7], v[6:7], v[153:154]
	v_add_f64 v[58:59], v[44:45], v[36:37]
	v_add_f64 v[48:49], v[44:45], -v[36:37]
	v_fma_f64 v[36:37], v[52:53], -0.5, v[56:57]
	v_add_f64 v[44:45], v[64:65], -v[62:63]
	v_fma_f64 v[70:71], v[70:71], -0.5, v[167:168]
	;; [unrolled: 2-line block ×3, first 2 shown]
	v_add_f64 v[18:19], v[18:19], v[60:61]
	v_add_f64 v[125:126], v[60:61], -v[46:47]
	v_add_f64 v[60:61], v[127:128], v[50:51]
	v_add_f64 v[50:51], v[127:128], -v[50:51]
	;; [unrolled: 2-line block ×3, first 2 shown]
	v_add_f64 v[127:128], v[153:154], -v[74:75]
	v_fma_f64 v[131:132], v[44:45], s[0:1], v[36:37]
	v_add_f64 v[6:7], v[6:7], v[74:75]
	v_fma_f64 v[74:75], v[129:130], s[0:1], v[70:71]
	v_fma_f64 v[70:71], v[129:130], s[4:5], v[70:71]
	;; [unrolled: 1-line block ×3, first 2 shown]
	v_add_f64 v[46:47], v[18:19], v[46:47]
	v_add_f64 v[64:65], v[167:168], v[64:65]
	;; [unrolled: 1-line block ×3, first 2 shown]
	v_mul_f64 v[44:45], v[131:132], s[4:5]
	v_fma_f64 v[133:134], v[125:126], s[4:5], v[68:69]
	v_mul_f64 v[18:19], v[74:75], -0.5
	v_mul_f64 v[66:67], v[70:71], s[0:1]
	v_fma_f64 v[68:69], v[125:126], s[0:1], v[68:69]
	v_fma_f64 v[125:126], v[127:128], s[0:1], v[20:21]
	v_add_f64 v[62:63], v[64:65], v[62:63]
	v_mul_f64 v[64:65], v[36:37], -0.5
	v_fma_f64 v[44:45], v[70:71], 0.5, v[44:45]
	v_fma_f64 v[70:71], v[127:128], s[4:5], v[20:21]
	v_fma_f64 v[18:19], v[36:37], s[4:5], v[18:19]
	v_add_f64 v[20:21], v[82:83], v[90:91]
	v_add_f64 v[36:37], v[56:57], v[38:39]
	v_fma_f64 v[38:39], v[131:132], 0.5, v[66:67]
	v_add_f64 v[139:140], v[32:33], v[80:81]
	v_add_f64 v[127:128], v[6:7], v[62:63]
	;; [unrolled: 1-line block ×3, first 2 shown]
	v_add_f64 v[44:45], v[133:134], -v[44:45]
	v_add_f64 v[131:132], v[68:69], v[18:19]
	v_fma_f64 v[133:134], v[20:21], -0.5, v[0:1]
	v_add_f64 v[137:138], v[68:69], -v[18:19]
	ds_read2_b64 v[18:21], v105 offset0:32 offset1:176
	v_fma_f64 v[74:75], v[74:75], s[0:1], v[64:65]
	v_add_f64 v[6:7], v[6:7], -v[62:63]
	v_add_f64 v[56:57], v[46:47], v[36:37]
	v_add_f64 v[141:142], v[72:73], v[76:77]
	v_add_f64 v[62:63], v[46:47], -v[36:37]
	v_add_f64 v[66:67], v[125:126], v[38:39]
	v_add_f64 v[64:65], v[125:126], -v[38:39]
	s_waitcnt lgkmcnt(0)
	v_add_f64 v[36:37], v[18:19], v[28:29]
	v_add_f64 v[38:39], v[72:73], -v[76:77]
	v_fma_f64 v[46:47], v[139:140], -0.5, v[40:41]
	v_add_f64 v[135:136], v[28:29], -v[78:79]
	v_fma_f64 v[125:126], v[141:142], -0.5, v[24:25]
	v_add_f64 v[139:140], v[32:33], -v[80:81]
	v_add_f64 v[28:29], v[28:29], v[78:79]
	v_add_f64 v[68:69], v[70:71], v[74:75]
	;; [unrolled: 1-line block ×3, first 2 shown]
	v_add_f64 v[70:71], v[70:71], -v[74:75]
	v_fma_f64 v[78:79], v[38:39], s[0:1], v[46:47]
	v_fma_f64 v[74:75], v[135:136], s[4:5], v[133:134]
	;; [unrolled: 1-line block ×3, first 2 shown]
	v_add_f64 v[0:1], v[0:1], v[82:83]
	v_fma_f64 v[135:136], v[139:140], s[0:1], v[125:126]
	v_fma_f64 v[125:126], v[139:140], s[4:5], v[125:126]
	;; [unrolled: 1-line block ×3, first 2 shown]
	v_add_f64 v[24:25], v[24:25], v[72:73]
	v_fma_f64 v[18:19], v[28:29], -0.5, v[18:19]
	v_mul_f64 v[28:29], v[78:79], s[4:5]
	v_add_f64 v[32:33], v[40:41], v[32:33]
	v_add_f64 v[82:83], v[82:83], -v[90:91]
	v_add_f64 v[0:1], v[0:1], v[90:91]
	v_mul_f64 v[46:47], v[135:136], -0.5
	v_mul_f64 v[40:41], v[125:126], s[0:1]
	v_mul_f64 v[72:73], v[38:39], -0.5
	v_add_f64 v[24:25], v[24:25], v[76:77]
	v_fma_f64 v[28:29], v[125:126], 0.5, v[28:29]
	v_add_f64 v[32:33], v[32:33], v[80:81]
	v_fma_f64 v[90:91], v[82:83], s[0:1], v[18:19]
	v_fma_f64 v[18:19], v[82:83], s[4:5], v[18:19]
	;; [unrolled: 1-line block ×3, first 2 shown]
	v_fma_f64 v[40:41], v[78:79], 0.5, v[40:41]
	v_fma_f64 v[46:47], v[135:136], s[0:1], v[72:73]
	v_add_f64 v[125:126], v[0:1], v[24:25]
	v_add_f64 v[0:1], v[0:1], -v[24:25]
	v_add_f64 v[24:25], v[74:75], v[28:29]
	v_add_f64 v[28:29], v[74:75], -v[28:29]
	;; [unrolled: 2-line block ×3, first 2 shown]
	v_add_f64 v[32:33], v[34:35], v[94:95]
	v_add_f64 v[36:37], v[86:87], v[88:89]
	;; [unrolled: 1-line block ×3, first 2 shown]
	v_add_f64 v[38:39], v[133:134], -v[38:39]
	v_add_f64 v[82:83], v[84:85], v[92:93]
	v_add_f64 v[76:77], v[90:91], v[40:41]
	v_add_f64 v[78:79], v[90:91], -v[40:41]
	v_add_f64 v[90:91], v[30:31], v[22:23]
	v_add_f64 v[133:134], v[86:87], -v[88:89]
	v_fma_f64 v[32:33], v[32:33], -0.5, v[42:43]
	v_fma_f64 v[36:37], v[36:37], -0.5, v[26:27]
	v_add_f64 v[139:140], v[34:35], -v[94:95]
	v_add_f64 v[80:81], v[18:19], v[46:47]
	v_fma_f64 v[40:41], v[82:83], -0.5, v[2:3]
	v_add_f64 v[2:3], v[2:3], v[84:85]
	v_add_f64 v[141:142], v[30:31], -v[22:23]
	v_add_f64 v[82:83], v[18:19], -v[46:47]
	v_fma_f64 v[18:19], v[90:91], -0.5, v[20:21]
	v_add_f64 v[20:21], v[20:21], v[30:31]
	v_fma_f64 v[30:31], v[133:134], s[0:1], v[32:33]
	v_add_f64 v[46:47], v[84:85], -v[92:93]
	v_fma_f64 v[84:85], v[139:140], s[0:1], v[36:37]
	v_fma_f64 v[32:33], v[133:134], s[4:5], v[32:33]
	v_add_f64 v[2:3], v[2:3], v[92:93]
	v_fma_f64 v[36:37], v[139:140], s[4:5], v[36:37]
	v_add_f64 v[26:27], v[26:27], v[86:87]
	v_add_f64 v[20:21], v[20:21], v[22:23]
	v_mul_f64 v[86:87], v[30:31], s[4:5]
	v_add_f64 v[34:35], v[42:43], v[34:35]
	v_mul_f64 v[22:23], v[84:85], -0.5
	v_mul_f64 v[92:93], v[32:33], -0.5
	v_fma_f64 v[90:91], v[141:142], s[4:5], v[40:41]
	v_mul_f64 v[42:43], v[36:37], s[0:1]
	v_add_f64 v[26:27], v[26:27], v[88:89]
	v_fma_f64 v[88:89], v[46:47], s[0:1], v[18:19]
	v_fma_f64 v[36:37], v[36:37], 0.5, v[86:87]
	v_fma_f64 v[18:19], v[46:47], s[4:5], v[18:19]
	v_fma_f64 v[22:23], v[32:33], s[4:5], v[22:23]
	v_add_f64 v[32:33], v[34:35], v[94:95]
	v_fma_f64 v[34:35], v[84:85], s[0:1], v[92:93]
	v_fma_f64 v[40:41], v[141:142], s[0:1], v[40:41]
	v_fma_f64 v[30:31], v[30:31], 0.5, v[42:43]
	v_add_f64 v[42:43], v[2:3], v[26:27]
	v_add_f64 v[2:3], v[2:3], -v[26:27]
	v_add_f64 v[26:27], v[90:91], v[36:37]
	v_add_f64 v[36:37], v[90:91], -v[36:37]
	;; [unrolled: 2-line block ×3, first 2 shown]
	v_mul_u32_u24_e32 v18, 0x120, v117
	v_mov_b32_e32 v117, 3
	v_add_f64 v[46:47], v[40:41], v[22:23]
	v_lshlrev_b32_sdwa v19, v117, v118 dst_sel:DWORD dst_unused:UNUSED_PAD src0_sel:DWORD src1_sel:BYTE_0
	v_add_f64 v[22:23], v[40:41], -v[22:23]
	v_add3_u32 v118, 0, v18, v19
	s_barrier
	ds_write2_b64 v118, v[14:15], v[16:17] offset1:6
	ds_write2_b64 v118, v[12:13], v[4:5] offset0:12 offset1:18
	ds_write2_b64 v118, v[8:9], v[10:11] offset0:24 offset1:30
	v_mul_u32_u24_e32 v4, 0x120, v119
	v_lshlrev_b32_e32 v5, 3, v120
	v_add3_u32 v119, 0, v4, v5
	v_mul_u32_u24_e32 v4, 0x120, v121
	v_lshlrev_b32_e32 v5, 3, v122
	v_add3_u32 v120, 0, v4, v5
	ds_write2_b64 v119, v[127:128], v[129:130] offset1:6
	ds_write2_b64 v119, v[131:132], v[6:7] offset0:12 offset1:18
	ds_write2_b64 v119, v[44:45], v[137:138] offset0:24 offset1:30
	ds_write2_b64 v120, v[125:126], v[24:25] offset1:6
	ds_write2_b64 v120, v[135:136], v[0:1] offset0:12 offset1:18
	ds_write2_b64 v120, v[28:29], v[38:39] offset0:24 offset1:30
	v_mul_u32_u24_e32 v0, 0x120, v123
	v_lshlrev_b32_e32 v1, 3, v124
	v_add3_u32 v121, 0, v0, v1
	v_add_f64 v[84:85], v[20:21], v[32:33]
	v_add_f64 v[86:87], v[20:21], -v[32:33]
	v_add_f64 v[90:91], v[88:89], v[30:31]
	v_add_f64 v[88:89], v[88:89], -v[30:31]
	ds_write2_b64 v121, v[42:43], v[26:27] offset1:6
	ds_write2_b64 v121, v[46:47], v[2:3] offset0:12 offset1:18
	ds_write2_b64 v121, v[36:37], v[22:23] offset0:24 offset1:30
	s_waitcnt lgkmcnt(0)
	s_barrier
	ds_read2_b64 v[4:7], v101 offset1:144
	ds_read2_b64 v[44:47], v114 offset0:64 offset1:208
	ds_read2_b64 v[40:43], v106 offset1:144
	ds_read2_b64 v[36:39], v103 offset0:64 offset1:208
	ds_read2_b64 v[32:35], v109 offset1:144
	ds_read2_b64 v[28:31], v107 offset0:64 offset1:208
	ds_read2_b64 v[0:3], v105 offset0:32 offset1:176
	ds_read2_b64 v[24:27], v102 offset0:96 offset1:240
	ds_read2_b64 v[20:23], v110 offset0:32 offset1:176
	ds_read2_b64 v[16:19], v108 offset0:96 offset1:240
	ds_read2_b64 v[12:15], v104 offset0:32 offset1:176
	ds_read2_b64 v[8:11], v111 offset0:96 offset1:240
	s_waitcnt lgkmcnt(0)
	s_barrier
	ds_write2_b64 v118, v[58:59], v[60:61] offset1:6
	ds_write2_b64 v118, v[52:53], v[48:49] offset0:12 offset1:18
	ds_write2_b64 v118, v[50:51], v[54:55] offset0:24 offset1:30
	ds_write2_b64 v119, v[56:57], v[66:67] offset1:6
	ds_write2_b64 v119, v[68:69], v[62:63] offset0:12 offset1:18
	ds_write2_b64 v119, v[64:65], v[70:71] offset0:24 offset1:30
	;; [unrolled: 3-line block ×4, first 2 shown]
	v_mov_b32_e32 v48, 57
	v_mul_lo_u16_sdwa v48, v100, v48 dst_sel:DWORD dst_unused:UNUSED_PAD src0_sel:BYTE_0 src1_sel:DWORD
	v_lshrrev_b16_e32 v49, 11, v48
	v_mul_lo_u16_e32 v48, 36, v49
	v_sub_u16_e32 v48, v100, v48
	v_mul_u32_u24_sdwa v50, v48, v116 dst_sel:DWORD dst_unused:UNUSED_PAD src0_sel:BYTE_0 src1_sel:DWORD
	v_lshlrev_b32_e32 v52, 4, v50
	s_waitcnt lgkmcnt(0)
	s_barrier
	global_load_dwordx4 v[56:59], v52, s[12:13] offset:480
	v_mul_u32_u24_sdwa v50, v112, s6 dst_sel:DWORD dst_unused:UNUSED_PAD src0_sel:WORD_0 src1_sel:DWORD
	v_lshrrev_b32_e32 v50, 21, v50
	v_mul_lo_u16_e32 v51, 36, v50
	v_sub_u16_e32 v51, v112, v51
	v_mul_u32_u24_e32 v53, 5, v51
	v_lshlrev_b32_e32 v53, 4, v53
	global_load_dwordx4 v[60:63], v53, s[12:13] offset:480
	global_load_dwordx4 v[64:67], v52, s[12:13] offset:496
	;; [unrolled: 1-line block ×9, first 2 shown]
	v_mul_u32_u24_sdwa v52, v115, s6 dst_sel:DWORD dst_unused:UNUSED_PAD src0_sel:WORD_0 src1_sel:DWORD
	v_lshrrev_b32_e32 v52, 21, v52
	v_mul_lo_u16_e32 v53, 36, v52
	v_sub_u16_e32 v53, v115, v53
	v_mul_u32_u24_e32 v54, 5, v53
	v_lshlrev_b32_e32 v116, 4, v54
	global_load_dwordx4 v[118:121], v116, s[12:13] offset:480
	v_mul_u32_u24_sdwa v54, v113, s6 dst_sel:DWORD dst_unused:UNUSED_PAD src0_sel:WORD_0 src1_sel:DWORD
	v_lshrrev_b32_e32 v54, 21, v54
	v_mul_lo_u16_e32 v55, 36, v54
	v_sub_u16_e32 v55, v113, v55
	v_mul_u32_u24_e32 v115, 5, v55
	v_lshlrev_b32_e32 v162, 4, v115
	global_load_dwordx4 v[122:125], v162, s[12:13] offset:480
	global_load_dwordx4 v[126:129], v116, s[12:13] offset:496
	;; [unrolled: 1-line block ×8, first 2 shown]
	ds_read2_b64 v[146:149], v114 offset0:64 offset1:208
	global_load_dwordx4 v[162:165], v162, s[12:13] offset:544
	ds_read2_b64 v[158:161], v106 offset1:144
	s_waitcnt vmcnt(18) lgkmcnt(1)
	v_mul_f64 v[166:167], v[148:149], v[62:63]
	v_mul_f64 v[114:115], v[146:147], v[58:59]
	v_mul_f64 v[58:59], v[44:45], v[58:59]
	v_mul_f64 v[62:63], v[46:47], v[62:63]
	v_fma_f64 v[166:167], v[46:47], v[60:61], -v[166:167]
	v_fma_f64 v[114:115], v[44:45], v[56:57], -v[114:115]
	v_fma_f64 v[146:147], v[146:147], v[56:57], v[58:59]
	ds_read2_b64 v[56:59], v103 offset0:64 offset1:208
	s_waitcnt vmcnt(17) lgkmcnt(1)
	v_mul_f64 v[44:45], v[158:159], v[66:67]
	v_mul_f64 v[66:67], v[40:41], v[66:67]
	v_fma_f64 v[60:61], v[148:149], v[60:61], v[62:63]
	s_waitcnt vmcnt(15)
	v_mul_f64 v[148:149], v[160:161], v[74:75]
	s_waitcnt lgkmcnt(0)
	v_mul_f64 v[62:63], v[56:57], v[70:71]
	v_mul_f64 v[70:71], v[36:37], v[70:71]
	;; [unrolled: 1-line block ×3, first 2 shown]
	v_fma_f64 v[168:169], v[40:41], v[64:65], -v[44:45]
	ds_read2_b64 v[44:47], v109 offset1:144
	s_waitcnt vmcnt(14)
	v_mul_f64 v[40:41], v[58:59], v[78:79]
	v_fma_f64 v[64:65], v[158:159], v[64:65], v[66:67]
	v_mul_f64 v[66:67], v[38:39], v[78:79]
	v_fma_f64 v[62:63], v[36:37], v[68:69], -v[62:63]
	v_fma_f64 v[56:57], v[56:57], v[68:69], v[70:71]
	v_fma_f64 v[68:69], v[42:43], v[72:73], -v[148:149]
	s_waitcnt vmcnt(13) lgkmcnt(0)
	v_mul_f64 v[42:43], v[44:45], v[82:83]
	v_fma_f64 v[72:73], v[160:161], v[72:73], v[74:75]
	v_fma_f64 v[74:75], v[38:39], v[76:77], -v[40:41]
	ds_read2_b64 v[36:39], v107 offset0:64 offset1:208
	v_mul_f64 v[70:71], v[32:33], v[82:83]
	v_fma_f64 v[58:59], v[58:59], v[76:77], v[66:67]
	s_waitcnt vmcnt(12)
	v_mul_f64 v[66:67], v[46:47], v[86:87]
	v_mul_f64 v[76:77], v[34:35], v[86:87]
	v_fma_f64 v[78:79], v[32:33], v[80:81], -v[42:43]
	s_waitcnt vmcnt(11) lgkmcnt(0)
	v_mul_f64 v[32:33], v[36:37], v[90:91]
	ds_read2_b64 v[40:43], v102 offset0:96 offset1:240
	s_waitcnt vmcnt(10)
	v_mul_f64 v[82:83], v[30:31], v[94:95]
	v_fma_f64 v[44:45], v[44:45], v[80:81], v[70:71]
	v_mul_f64 v[70:71], v[28:29], v[90:91]
	v_mul_f64 v[80:81], v[38:39], v[94:95]
	v_fma_f64 v[66:67], v[34:35], v[84:85], -v[66:67]
	s_waitcnt vmcnt(9) lgkmcnt(0)
	v_mul_f64 v[34:35], v[40:41], v[120:121]
	v_fma_f64 v[46:47], v[46:47], v[84:85], v[76:77]
	v_fma_f64 v[76:77], v[28:29], v[88:89], -v[32:33]
	v_mul_f64 v[32:33], v[24:25], v[120:121]
	v_fma_f64 v[38:39], v[38:39], v[92:93], v[82:83]
	v_fma_f64 v[36:37], v[36:37], v[88:89], v[70:71]
	v_fma_f64 v[70:71], v[30:31], v[92:93], -v[80:81]
	s_waitcnt vmcnt(8)
	v_mul_f64 v[82:83], v[26:27], v[124:125]
	v_fma_f64 v[80:81], v[24:25], v[118:119], -v[34:35]
	v_mul_f64 v[24:25], v[42:43], v[124:125]
	ds_read2_b64 v[28:31], v110 offset0:32 offset1:176
	v_fma_f64 v[40:41], v[40:41], v[118:119], v[32:33]
	ds_read2_b64 v[32:35], v108 offset0:96 offset1:240
	s_waitcnt vmcnt(7)
	v_mul_f64 v[86:87], v[20:21], v[128:129]
	s_waitcnt vmcnt(6)
	v_mul_f64 v[90:91], v[22:23], v[132:133]
	s_waitcnt lgkmcnt(1)
	v_mul_f64 v[84:85], v[28:29], v[128:129]
	v_mul_f64 v[88:89], v[30:31], v[132:133]
	v_fma_f64 v[26:27], v[26:27], v[122:123], -v[24:25]
	v_fma_f64 v[24:25], v[42:43], v[122:123], v[82:83]
	s_waitcnt vmcnt(5) lgkmcnt(0)
	v_mul_f64 v[42:43], v[32:33], v[136:137]
	s_waitcnt vmcnt(4)
	v_mul_f64 v[92:93], v[34:35], v[140:141]
	s_waitcnt vmcnt(3)
	v_mul_f64 v[94:95], v[12:13], v[144:145]
	v_fma_f64 v[86:87], v[28:29], v[126:127], v[86:87]
	v_fma_f64 v[82:83], v[20:21], v[126:127], -v[84:85]
	v_mul_f64 v[84:85], v[16:17], v[136:137]
	v_fma_f64 v[88:89], v[22:23], v[130:131], -v[88:89]
	v_fma_f64 v[90:91], v[30:31], v[130:131], v[90:91]
	v_fma_f64 v[42:43], v[16:17], v[134:135], -v[42:43]
	v_mul_f64 v[16:17], v[18:19], v[140:141]
	ds_read2_b64 v[20:23], v104 offset0:32 offset1:176
	ds_read2_b64 v[28:31], v111 offset0:96 offset1:240
	v_fma_f64 v[18:19], v[18:19], v[138:139], -v[92:93]
	v_fma_f64 v[32:33], v[32:33], v[134:135], v[84:85]
	s_waitcnt vmcnt(2)
	v_mul_f64 v[92:93], v[14:15], v[152:153]
	s_waitcnt lgkmcnt(1)
	v_mul_f64 v[84:85], v[20:21], v[144:145]
	v_fma_f64 v[20:21], v[20:21], v[142:143], v[94:95]
	v_fma_f64 v[16:17], v[34:35], v[138:139], v[16:17]
	s_waitcnt vmcnt(1) lgkmcnt(0)
	v_mul_f64 v[34:35], v[28:29], v[156:157]
	v_add_f64 v[94:95], v[62:63], v[76:77]
	v_mul_f64 v[118:119], v[22:23], v[152:153]
	v_mul_f64 v[120:121], v[8:9], v[156:157]
	v_fma_f64 v[22:23], v[22:23], v[150:151], v[92:93]
	v_add_f64 v[92:93], v[168:169], v[78:79]
	v_add_f64 v[126:127], v[56:57], -v[36:37]
	v_fma_f64 v[12:13], v[12:13], v[142:143], -v[84:85]
	v_fma_f64 v[34:35], v[8:9], v[154:155], -v[34:35]
	v_add_f64 v[8:9], v[56:57], v[36:37]
	v_fma_f64 v[94:95], v[94:95], -0.5, v[114:115]
	s_waitcnt vmcnt(0)
	v_mul_f64 v[84:85], v[30:31], v[164:165]
	v_fma_f64 v[14:15], v[14:15], v[150:151], -v[118:119]
	v_fma_f64 v[28:29], v[28:29], v[154:155], v[120:121]
	v_mul_f64 v[118:119], v[10:11], v[164:165]
	v_add_f64 v[120:121], v[4:5], v[168:169]
	v_fma_f64 v[4:5], v[92:93], -0.5, v[4:5]
	v_add_f64 v[92:93], v[64:65], -v[44:45]
	v_add_f64 v[122:123], v[62:63], -v[76:77]
	v_fma_f64 v[124:125], v[8:9], -0.5, v[146:147]
	v_fma_f64 v[132:133], v[126:127], s[0:1], v[94:95]
	v_fma_f64 v[84:85], v[10:11], v[162:163], -v[84:85]
	ds_read2_b64 v[8:11], v101 offset1:144
	v_fma_f64 v[30:31], v[30:31], v[162:163], v[118:119]
	v_add_f64 v[118:119], v[64:65], v[44:45]
	v_fma_f64 v[130:131], v[92:93], s[4:5], v[4:5]
	v_fma_f64 v[94:95], v[126:127], s[4:5], v[94:95]
	;; [unrolled: 1-line block ×3, first 2 shown]
	s_waitcnt lgkmcnt(0)
	v_add_f64 v[64:65], v[8:9], v[64:65]
	v_add_f64 v[62:63], v[114:115], v[62:63]
	v_fma_f64 v[114:115], v[122:123], s[4:5], v[124:125]
	v_fma_f64 v[4:5], v[92:93], s[0:1], v[4:5]
	v_mul_f64 v[92:93], v[132:133], -0.5
	v_add_f64 v[120:121], v[120:121], v[78:79]
	v_add_f64 v[78:79], v[168:169], -v[78:79]
	v_fma_f64 v[8:9], v[118:119], -0.5, v[8:9]
	v_mul_f64 v[118:119], v[128:129], s[4:5]
	v_add_f64 v[44:45], v[64:65], v[44:45]
	v_add_f64 v[56:57], v[146:147], v[56:57]
	v_mul_f64 v[64:65], v[94:95], s[0:1]
	v_add_f64 v[62:63], v[62:63], v[76:77]
	v_fma_f64 v[92:93], v[114:115], s[4:5], v[92:93]
	v_mul_f64 v[76:77], v[114:115], -0.5
	v_add_f64 v[122:123], v[58:59], v[38:39]
	v_fma_f64 v[94:95], v[94:95], 0.5, v[118:119]
	v_fma_f64 v[118:119], v[78:79], s[0:1], v[8:9]
	v_add_f64 v[36:37], v[56:57], v[36:37]
	v_fma_f64 v[56:57], v[128:129], 0.5, v[64:65]
	v_add_f64 v[64:65], v[120:121], v[62:63]
	v_add_f64 v[62:63], v[120:121], -v[62:63]
	v_add_f64 v[114:115], v[4:5], v[92:93]
	v_add_f64 v[120:121], v[68:69], v[66:67]
	v_add_f64 v[92:93], v[4:5], -v[92:93]
	v_add_f64 v[4:5], v[74:75], v[70:71]
	v_fma_f64 v[8:9], v[78:79], s[4:5], v[8:9]
	v_fma_f64 v[76:77], v[132:133], s[0:1], v[76:77]
	v_add_f64 v[124:125], v[44:45], v[36:37]
	v_add_f64 v[44:45], v[44:45], -v[36:37]
	v_add_f64 v[126:127], v[118:119], v[56:57]
	v_add_f64 v[118:119], v[118:119], -v[56:57]
	v_fma_f64 v[36:37], v[120:121], -0.5, v[6:7]
	v_fma_f64 v[56:57], v[122:123], -0.5, v[60:61]
	v_add_f64 v[120:121], v[74:75], -v[70:71]
	v_fma_f64 v[4:5], v[4:5], -0.5, v[166:167]
	v_add_f64 v[122:123], v[58:59], -v[38:39]
	v_add_f64 v[132:133], v[8:9], v[76:77]
	v_add_f64 v[76:77], v[8:9], -v[76:77]
	v_add_f64 v[78:79], v[130:131], v[94:95]
	;; [unrolled: 2-line block ×3, first 2 shown]
	v_fma_f64 v[8:9], v[120:121], s[0:1], v[56:57]
	v_add_f64 v[130:131], v[72:73], -v[46:47]
	v_fma_f64 v[134:135], v[122:123], s[0:1], v[4:5]
	v_add_f64 v[6:7], v[6:7], v[68:69]
	v_add_f64 v[74:75], v[166:167], v[74:75]
	v_fma_f64 v[4:5], v[122:123], s[4:5], v[4:5]
	v_fma_f64 v[56:57], v[120:121], s[4:5], v[56:57]
	v_add_f64 v[72:73], v[10:11], v[72:73]
	v_mul_f64 v[122:123], v[8:9], s[4:5]
	v_fma_f64 v[10:11], v[128:129], -0.5, v[10:11]
	v_mul_f64 v[120:121], v[134:135], -0.5
	v_fma_f64 v[128:129], v[130:131], s[4:5], v[36:37]
	v_fma_f64 v[36:37], v[130:131], s[0:1], v[36:37]
	v_add_f64 v[6:7], v[6:7], v[66:67]
	v_add_f64 v[66:67], v[68:69], -v[66:67]
	v_add_f64 v[58:59], v[60:61], v[58:59]
	v_add_f64 v[60:61], v[74:75], v[70:71]
	v_fma_f64 v[68:69], v[4:5], 0.5, v[122:123]
	v_mul_f64 v[4:5], v[4:5], s[0:1]
	v_fma_f64 v[70:71], v[56:57], s[4:5], v[120:121]
	v_add_f64 v[46:47], v[72:73], v[46:47]
	v_mul_f64 v[56:57], v[56:57], -0.5
	v_fma_f64 v[72:73], v[66:67], s[0:1], v[10:11]
	v_add_f64 v[38:39], v[58:59], v[38:39]
	v_add_f64 v[58:59], v[82:83], v[12:13]
	;; [unrolled: 1-line block ×3, first 2 shown]
	v_fma_f64 v[8:9], v[8:9], 0.5, v[4:5]
	v_add_f64 v[120:121], v[36:37], v[70:71]
	v_add_f64 v[36:37], v[36:37], -v[70:71]
	v_add_f64 v[70:71], v[32:33], v[28:29]
	v_fma_f64 v[10:11], v[66:67], s[4:5], v[10:11]
	v_add_f64 v[66:67], v[6:7], v[60:61]
	v_add_f64 v[60:61], v[6:7], -v[60:61]
	ds_read2_b64 v[4:7], v105 offset0:32 offset1:176
	v_add_f64 v[74:75], v[128:129], v[68:69]
	v_fma_f64 v[56:57], v[134:135], s[0:1], v[56:57]
	v_add_f64 v[68:69], v[128:129], -v[68:69]
	v_fma_f64 v[58:59], v[58:59], -0.5, v[0:1]
	v_add_f64 v[122:123], v[86:87], -v[20:21]
	v_add_f64 v[128:129], v[46:47], v[38:39]
	v_add_f64 v[134:135], v[72:73], v[8:9]
	v_add_f64 v[136:137], v[46:47], -v[38:39]
	v_add_f64 v[72:73], v[72:73], -v[8:9]
	s_waitcnt lgkmcnt(0)
	v_add_f64 v[8:9], v[4:5], v[86:87]
	v_add_f64 v[38:39], v[42:43], -v[34:35]
	v_fma_f64 v[46:47], v[70:71], -0.5, v[40:41]
	v_fma_f64 v[70:71], v[130:131], -0.5, v[80:81]
	v_add_f64 v[130:131], v[32:33], -v[28:29]
	v_add_f64 v[138:139], v[10:11], v[56:57]
	v_add_f64 v[140:141], v[10:11], -v[56:57]
	v_fma_f64 v[10:11], v[122:123], s[4:5], v[58:59]
	v_fma_f64 v[56:57], v[122:123], s[0:1], v[58:59]
	v_add_f64 v[8:9], v[8:9], v[20:21]
	v_add_f64 v[20:21], v[86:87], v[20:21]
	v_fma_f64 v[58:59], v[38:39], s[0:1], v[46:47]
	v_add_f64 v[0:1], v[0:1], v[82:83]
	v_fma_f64 v[86:87], v[130:131], s[0:1], v[70:71]
	v_fma_f64 v[70:71], v[130:131], s[4:5], v[70:71]
	v_add_f64 v[32:33], v[40:41], v[32:33]
	v_add_f64 v[82:83], v[82:83], -v[12:13]
	v_fma_f64 v[38:39], v[38:39], s[4:5], v[46:47]
	v_add_f64 v[42:43], v[80:81], v[42:43]
	v_fma_f64 v[4:5], v[20:21], -0.5, v[4:5]
	v_mul_f64 v[20:21], v[58:59], s[4:5]
	v_add_f64 v[0:1], v[0:1], v[12:13]
	v_mul_f64 v[12:13], v[86:87], -0.5
	v_mul_f64 v[40:41], v[70:71], s[0:1]
	v_add_f64 v[28:29], v[32:33], v[28:29]
	v_mul_f64 v[46:47], v[38:39], -0.5
	v_add_f64 v[34:35], v[42:43], v[34:35]
	v_fma_f64 v[42:43], v[82:83], s[0:1], v[4:5]
	v_fma_f64 v[20:21], v[70:71], 0.5, v[20:21]
	v_fma_f64 v[4:5], v[82:83], s[4:5], v[4:5]
	v_fma_f64 v[12:13], v[38:39], s[4:5], v[12:13]
	v_fma_f64 v[32:33], v[58:59], 0.5, v[40:41]
	v_add_f64 v[58:59], v[8:9], v[28:29]
	v_add_f64 v[70:71], v[8:9], -v[28:29]
	v_add_f64 v[8:9], v[16:17], v[30:31]
	v_add_f64 v[28:29], v[18:19], v[84:85]
	v_fma_f64 v[38:39], v[86:87], s[0:1], v[46:47]
	v_add_f64 v[40:41], v[0:1], v[34:35]
	v_add_f64 v[0:1], v[0:1], -v[34:35]
	v_add_f64 v[34:35], v[10:11], v[20:21]
	v_add_f64 v[10:11], v[10:11], -v[20:21]
	;; [unrolled: 2-line block ×3, first 2 shown]
	v_add_f64 v[56:57], v[18:19], -v[84:85]
	v_fma_f64 v[8:9], v[8:9], -0.5, v[24:25]
	v_add_f64 v[80:81], v[42:43], v[32:33]
	v_add_f64 v[82:83], v[42:43], -v[32:33]
	v_add_f64 v[32:33], v[88:89], v[14:15]
	v_add_f64 v[46:47], v[90:91], v[22:23]
	v_fma_f64 v[28:29], v[28:29], -0.5, v[26:27]
	v_add_f64 v[122:123], v[16:17], -v[30:31]
	v_add_f64 v[86:87], v[4:5], v[38:39]
	v_add_f64 v[130:131], v[4:5], -v[38:39]
	v_fma_f64 v[38:39], v[56:57], s[0:1], v[8:9]
	v_add_f64 v[42:43], v[2:3], v[88:89]
	v_fma_f64 v[2:3], v[32:33], -0.5, v[2:3]
	v_add_f64 v[32:33], v[90:91], -v[22:23]
	v_fma_f64 v[4:5], v[46:47], -0.5, v[6:7]
	v_fma_f64 v[46:47], v[122:123], s[0:1], v[28:29]
	v_fma_f64 v[8:9], v[56:57], s[4:5], v[8:9]
	v_add_f64 v[6:7], v[6:7], v[90:91]
	v_fma_f64 v[28:29], v[122:123], s[4:5], v[28:29]
	v_add_f64 v[18:19], v[26:27], v[18:19]
	v_mul_f64 v[26:27], v[38:39], s[4:5]
	v_add_f64 v[42:43], v[42:43], v[14:15]
	v_add_f64 v[14:15], v[88:89], -v[14:15]
	v_fma_f64 v[88:89], v[32:33], s[4:5], v[2:3]
	v_fma_f64 v[2:3], v[32:33], s[0:1], v[2:3]
	v_mul_f64 v[32:33], v[46:47], -0.5
	v_add_f64 v[16:17], v[24:25], v[16:17]
	v_mul_f64 v[24:25], v[8:9], -0.5
	v_add_f64 v[6:7], v[6:7], v[22:23]
	v_mul_f64 v[22:23], v[28:29], s[0:1]
	v_add_f64 v[18:19], v[18:19], v[84:85]
	v_fma_f64 v[26:27], v[28:29], 0.5, v[26:27]
	v_fma_f64 v[28:29], v[14:15], s[0:1], v[4:5]
	v_fma_f64 v[8:9], v[8:9], s[4:5], v[32:33]
	;; [unrolled: 1-line block ×4, first 2 shown]
	v_add_f64 v[14:15], v[16:17], v[30:31]
	v_fma_f64 v[16:17], v[38:39], 0.5, v[22:23]
	v_add_f64 v[22:23], v[42:43], v[18:19]
	v_add_f64 v[30:31], v[88:89], v[26:27]
	v_add_f64 v[18:19], v[42:43], -v[18:19]
	v_add_f64 v[32:33], v[2:3], v[8:9]
	v_add_f64 v[26:27], v[88:89], -v[26:27]
	v_add_f64 v[2:3], v[2:3], -v[8:9]
	v_add_f64 v[122:123], v[4:5], v[24:25]
	v_add_f64 v[144:145], v[4:5], -v[24:25]
	v_mul_u32_u24_e32 v4, 0x6c0, v49
	v_lshlrev_b32_sdwa v5, v117, v48 dst_sel:DWORD dst_unused:UNUSED_PAD src0_sel:DWORD src1_sel:BYTE_0
	v_add3_u32 v47, 0, v4, v5
	v_mul_u32_u24_e32 v4, 0x6c0, v50
	v_lshlrev_b32_e32 v5, 3, v51
	v_add3_u32 v48, 0, v4, v5
	v_mul_u32_u24_e32 v4, 0x6c0, v52
	v_lshlrev_b32_e32 v5, 3, v53
	v_add3_u32 v49, 0, v4, v5
	s_barrier
	ds_write2_b64 v47, v[64:65], v[78:79] offset1:36
	ds_write2_b64 v47, v[114:115], v[62:63] offset0:72 offset1:108
	ds_write2_b64 v47, v[94:95], v[92:93] offset0:144 offset1:180
	ds_write2_b64 v48, v[66:67], v[74:75] offset1:36
	ds_write2_b64 v48, v[120:121], v[60:61] offset0:72 offset1:108
	ds_write2_b64 v48, v[68:69], v[36:37] offset0:144 offset1:180
	;; [unrolled: 3-line block ×3, first 2 shown]
	v_mul_u32_u24_e32 v0, 0x6c0, v54
	v_lshlrev_b32_e32 v1, 3, v55
	v_add3_u32 v50, 0, v0, v1
	v_add_f64 v[84:85], v[6:7], v[14:15]
	v_add_f64 v[88:89], v[28:29], v[16:17]
	v_add_f64 v[90:91], v[6:7], -v[14:15]
	v_add_f64 v[142:143], v[28:29], -v[16:17]
	ds_write2_b64 v50, v[22:23], v[30:31] offset1:36
	ds_write2_b64 v50, v[32:33], v[18:19] offset0:72 offset1:108
	ds_write2_b64 v50, v[26:27], v[2:3] offset0:144 offset1:180
	s_waitcnt lgkmcnt(0)
	s_barrier
	ds_read2_b64 v[4:7], v101 offset1:144
	ds_read2_b64 v[54:57], v102 offset0:96 offset1:240
	ds_read2_b64 v[36:39], v103 offset0:64 offset1:208
	;; [unrolled: 1-line block ×4, first 2 shown]
	ds_read2_b64 v[28:31], v106 offset1:144
	ds_read2_b64 v[24:27], v108 offset0:96 offset1:240
	ds_read2_b64 v[20:23], v107 offset0:64 offset1:208
	;; [unrolled: 1-line block ×3, first 2 shown]
	ds_read2_b64 v[12:15], v109 offset1:144
	ds_read2_b64 v[8:11], v111 offset0:96 offset1:240
	v_lshl_add_u32 v46, v100, 3, 0
	ds_read_b64 v[42:43], v101 offset:4608
	ds_read_b64 v[40:41], v46 offset:5760
	s_waitcnt lgkmcnt(0)
	s_barrier
	ds_write2_b64 v47, v[124:125], v[126:127] offset1:36
	ds_write2_b64 v47, v[132:133], v[44:45] offset0:72 offset1:108
	ds_write2_b64 v47, v[118:119], v[76:77] offset0:144 offset1:180
	ds_write2_b64 v48, v[128:129], v[134:135] offset1:36
	ds_write2_b64 v48, v[138:139], v[136:137] offset0:72 offset1:108
	ds_write2_b64 v48, v[72:73], v[140:141] offset0:144 offset1:180
	;; [unrolled: 3-line block ×4, first 2 shown]
	v_mul_u32_u24_e32 v44, 3, v100
	s_movk_i32 s0, 0x48
	v_lshlrev_b32_e32 v45, 4, v44
	v_add_u32_e32 v44, 0xffffffb8, v100
	v_cmp_gt_u32_e64 s[0:1], s0, v100
	v_cndmask_b32_e64 v44, v44, v112, s[0:1]
	v_mov_b32_e32 v53, 0
	v_mul_i32_i24_e32 v52, 3, v44
	v_lshlrev_b64 v[47:48], 4, v[52:53]
	s_waitcnt lgkmcnt(0)
	s_barrier
	global_load_dwordx4 v[61:64], v45, s[12:13] offset:3360
	v_mov_b32_e32 v49, s13
	v_add_co_u32_e64 v47, s[0:1], s12, v47
	v_addc_co_u32_e64 v48, s[0:1], v49, v48, s[0:1]
	global_load_dwordx4 v[65:68], v[47:48], off offset:3360
	global_load_dwordx4 v[69:72], v45, s[12:13] offset:3376
	global_load_dwordx4 v[73:76], v45, s[12:13] offset:3392
	global_load_dwordx4 v[77:80], v[47:48], off offset:3376
	global_load_dwordx4 v[81:84], v[47:48], off offset:3392
	v_add_co_u32_e64 v58, s[0:1], s12, v45
	s_movk_i32 s4, 0x1000
	v_addc_co_u32_e64 v59, s[0:1], 0, v49, s[0:1]
	v_add_co_u32_e64 v47, s[0:1], s4, v58
	v_addc_co_u32_e64 v48, s[0:1], 0, v59, s[0:1]
	global_load_dwordx4 v[85:88], v[47:48], off offset:2720
	v_lshrrev_b16_e32 v45, 3, v113
	v_mul_u32_u24_e32 v45, 0x12f7, v45
	v_lshrrev_b32_e32 v45, 17, v45
	v_mul_lo_u16_e32 v45, 0xd8, v45
	v_sub_u16_e32 v45, v113, v45
	v_mul_u32_u24_e32 v47, 3, v45
	s_movk_i32 s0, 0x1aa0
	v_lshlrev_b32_e32 v49, 4, v47
	v_add_co_u32_e64 v47, s[0:1], s0, v58
	global_load_dwordx4 v[89:92], v49, s[12:13] offset:3360
	v_addc_co_u32_e64 v48, s[0:1], 0, v59, s[0:1]
	global_load_dwordx4 v[112:115], v[47:48], off offset:16
	global_load_dwordx4 v[116:119], v[47:48], off offset:32
	global_load_dwordx4 v[120:123], v49, s[12:13] offset:3376
	global_load_dwordx4 v[124:127], v49, s[12:13] offset:3392
	v_add_u16_e32 v48, 0x240, v100
	v_lshrrev_b16_e32 v47, 3, v48
	v_mul_u32_u24_e32 v47, 0x12f7, v47
	v_lshrrev_b32_e32 v47, 17, v47
	v_mul_lo_u16_e32 v49, 0xd8, v47
	v_sub_u16_e32 v48, v48, v49
	v_add_u32_e32 v60, 0x2d0, v100
	v_mul_u32_u24_e32 v49, 3, v48
	v_lshlrev_b32_e32 v50, 4, v49
	v_lshrrev_b16_e32 v49, 3, v60
	v_mul_u32_u24_e32 v49, 0x12f7, v49
	v_lshrrev_b32_e32 v49, 17, v49
	v_mul_lo_u16_e32 v49, 0xd8, v49
	v_sub_u16_e32 v49, v60, v49
	v_mul_u32_u24_e32 v51, 3, v49
	v_lshlrev_b32_e32 v51, 4, v51
	global_load_dwordx4 v[128:131], v50, s[12:13] offset:3360
	global_load_dwordx4 v[132:135], v51, s[12:13] offset:3360
	;; [unrolled: 1-line block ×4, first 2 shown]
	ds_read2_b64 v[144:147], v102 offset0:96 offset1:240
	global_load_dwordx4 v[148:151], v50, s[12:13] offset:3392
	global_load_dwordx4 v[152:155], v51, s[12:13] offset:3392
	ds_read2_b64 v[156:159], v103 offset0:64 offset1:208
	v_add_u32_e32 v95, 0xd00, v101
	s_movk_i32 s0, 0x47
	v_cmp_lt_u32_e64 s[0:1], s0, v100
	s_waitcnt vmcnt(17) lgkmcnt(1)
	v_mul_f64 v[50:51], v[144:145], v[63:64]
	v_mul_f64 v[63:64], v[54:55], v[63:64]
	s_waitcnt vmcnt(16)
	v_mul_f64 v[93:94], v[146:147], v[67:68]
	v_mul_f64 v[67:68], v[56:57], v[67:68]
	s_waitcnt vmcnt(15) lgkmcnt(0)
	v_mul_f64 v[160:161], v[156:157], v[71:72]
	v_mul_f64 v[71:72], v[36:37], v[71:72]
	v_fma_f64 v[50:51], v[54:55], v[61:62], -v[50:51]
	v_fma_f64 v[144:145], v[144:145], v[61:62], v[63:64]
	v_fma_f64 v[93:94], v[56:57], v[65:66], -v[93:94]
	v_fma_f64 v[65:66], v[146:147], v[65:66], v[67:68]
	s_waitcnt vmcnt(13)
	v_mul_f64 v[67:68], v[158:159], v[79:80]
	ds_read2_b64 v[54:57], v104 offset0:32 offset1:176
	v_mul_f64 v[79:80], v[38:39], v[79:80]
	ds_read2_b64 v[61:64], v106 offset1:144
	v_fma_f64 v[146:147], v[36:37], v[69:70], -v[160:161]
	v_fma_f64 v[69:70], v[156:157], v[69:70], v[71:72]
	s_waitcnt lgkmcnt(1)
	v_mul_f64 v[36:37], v[54:55], v[75:76]
	v_mul_f64 v[71:72], v[32:33], v[75:76]
	s_waitcnt vmcnt(12)
	v_mul_f64 v[75:76], v[56:57], v[83:84]
	v_mul_f64 v[83:84], v[34:35], v[83:84]
	v_fma_f64 v[67:68], v[38:39], v[77:78], -v[67:68]
	s_waitcnt vmcnt(11) lgkmcnt(0)
	v_mul_f64 v[38:39], v[61:62], v[87:88]
	v_fma_f64 v[77:78], v[158:159], v[77:78], v[79:80]
	v_mul_f64 v[79:80], v[28:29], v[87:88]
	v_fma_f64 v[87:88], v[32:33], v[73:74], -v[36:37]
	v_fma_f64 v[71:72], v[54:55], v[73:74], v[71:72]
	v_fma_f64 v[73:74], v[34:35], v[81:82], -v[75:76]
	ds_read2_b64 v[32:35], v108 offset0:96 offset1:240
	v_fma_f64 v[75:76], v[56:57], v[81:82], v[83:84]
	v_fma_f64 v[81:82], v[28:29], v[85:86], -v[38:39]
	s_waitcnt vmcnt(10)
	v_mul_f64 v[28:29], v[63:64], v[91:92]
	v_fma_f64 v[79:80], v[61:62], v[85:86], v[79:80]
	s_waitcnt vmcnt(9) lgkmcnt(0)
	v_mul_f64 v[56:57], v[32:33], v[114:115]
	ds_read2_b64 v[36:39], v107 offset0:64 offset1:208
	v_mul_f64 v[61:62], v[24:25], v[114:115]
	s_waitcnt vmcnt(7)
	v_mul_f64 v[83:84], v[34:35], v[122:123]
	v_mul_f64 v[85:86], v[26:27], v[122:123]
	;; [unrolled: 1-line block ×3, first 2 shown]
	v_fma_f64 v[91:92], v[30:31], v[89:90], -v[28:29]
	s_waitcnt lgkmcnt(0)
	v_mul_f64 v[28:29], v[36:37], v[118:119]
	v_mul_f64 v[30:31], v[20:21], v[118:119]
	v_fma_f64 v[114:115], v[24:25], v[112:113], -v[56:57]
	v_fma_f64 v[112:113], v[32:33], v[112:113], v[61:62]
	v_fma_f64 v[32:33], v[26:27], v[120:121], -v[83:84]
	ds_read2_b64 v[24:27], v110 offset0:32 offset1:176
	v_fma_f64 v[83:84], v[34:35], v[120:121], v[85:86]
	s_waitcnt vmcnt(4)
	v_mul_f64 v[85:86], v[18:19], v[134:135]
	v_fma_f64 v[89:90], v[63:64], v[89:90], v[54:55]
	v_fma_f64 v[20:21], v[20:21], v[116:117], -v[28:29]
	v_fma_f64 v[36:37], v[36:37], v[116:117], v[30:31]
	v_mul_f64 v[54:55], v[22:23], v[126:127]
	s_waitcnt lgkmcnt(0)
	v_mul_f64 v[56:57], v[24:25], v[130:131]
	ds_read2_b64 v[28:31], v109 offset1:144
	v_mul_f64 v[61:62], v[16:17], v[130:131]
	v_mul_f64 v[63:64], v[26:27], v[134:135]
	v_mul_f64 v[34:35], v[38:39], v[126:127]
	s_waitcnt vmcnt(3)
	v_mul_f64 v[116:117], v[12:13], v[138:139]
	v_fma_f64 v[85:86], v[26:27], v[132:133], v[85:86]
	s_waitcnt vmcnt(2) lgkmcnt(0)
	v_mul_f64 v[26:27], v[30:31], v[142:143]
	v_fma_f64 v[38:39], v[38:39], v[124:125], v[54:55]
	v_fma_f64 v[118:119], v[16:17], v[128:129], -v[56:57]
	v_fma_f64 v[120:121], v[24:25], v[128:129], v[61:62]
	v_fma_f64 v[24:25], v[18:19], v[132:133], -v[63:64]
	ds_read2_b64 v[16:19], v111 offset0:96 offset1:240
	ds_read2_b64 v[54:57], v101 offset1:144
	v_fma_f64 v[22:23], v[22:23], v[124:125], -v[34:35]
	v_mul_f64 v[34:35], v[28:29], v[138:139]
	v_fma_f64 v[116:117], v[28:29], v[136:137], v[116:117]
	v_mul_f64 v[28:29], v[14:15], v[142:143]
	v_fma_f64 v[14:15], v[14:15], v[140:141], -v[26:27]
	s_waitcnt vmcnt(1) lgkmcnt(1)
	v_mul_f64 v[26:27], v[16:17], v[150:151]
	s_waitcnt lgkmcnt(0)
	v_add_f64 v[69:70], v[54:55], -v[69:70]
	v_add_f64 v[71:72], v[144:145], -v[71:72]
	;; [unrolled: 1-line block ×3, first 2 shown]
	v_fma_f64 v[12:13], v[12:13], v[136:137], -v[34:35]
	v_add_f64 v[34:35], v[4:5], -v[146:147]
	v_mul_f64 v[61:62], v[8:9], v[150:151]
	v_fma_f64 v[122:123], v[30:31], v[140:141], v[28:29]
	v_fma_f64 v[8:9], v[8:9], v[148:149], -v[26:27]
	s_waitcnt vmcnt(0)
	v_mul_f64 v[26:27], v[10:11], v[154:155]
	v_fma_f64 v[28:29], v[54:55], 2.0, -v[69:70]
	v_fma_f64 v[30:31], v[144:145], 2.0, -v[71:72]
	v_add_f64 v[54:55], v[6:7], -v[67:68]
	v_add_f64 v[67:68], v[93:94], -v[73:74]
	v_mul_f64 v[63:64], v[18:19], v[154:155]
	v_fma_f64 v[4:5], v[4:5], 2.0, -v[34:35]
	v_fma_f64 v[50:51], v[50:51], 2.0, -v[87:88]
	v_fma_f64 v[18:19], v[18:19], v[152:153], v[26:27]
	v_add_f64 v[71:72], v[34:35], -v[71:72]
	v_add_f64 v[126:127], v[28:29], -v[30:31]
	;; [unrolled: 1-line block ×3, first 2 shown]
	v_fma_f64 v[26:27], v[93:94], 2.0, -v[67:68]
	v_add_f64 v[93:94], v[81:82], -v[20:21]
	v_fma_f64 v[10:11], v[10:11], v[152:153], -v[63:64]
	v_add_f64 v[50:51], v[4:5], -v[50:51]
	v_fma_f64 v[16:17], v[16:17], v[148:149], v[61:62]
	v_fma_f64 v[6:7], v[6:7], 2.0, -v[54:55]
	v_fma_f64 v[114:115], v[28:29], 2.0, -v[126:127]
	;; [unrolled: 1-line block ×5, first 2 shown]
	v_add_f64 v[81:82], v[91:92], -v[22:23]
	v_fma_f64 v[4:5], v[4:5], 2.0, -v[50:51]
	v_add_f64 v[32:33], v[2:3], -v[32:33]
	v_add_f64 v[75:76], v[65:66], -v[75:76]
	;; [unrolled: 1-line block ×6, first 2 shown]
	v_fma_f64 v[34:35], v[91:92], 2.0, -v[81:82]
	v_add_f64 v[14:15], v[40:41], -v[14:15]
	v_add_f64 v[91:92], v[24:25], -v[10:11]
	ds_read2_b64 v[61:64], v105 offset0:32 offset1:176
	ds_read_b64 v[73:74], v101 offset:4608
	ds_read_b64 v[124:125], v46 offset:5760
	v_add_f64 v[20:21], v[6:7], -v[26:27]
	v_fma_f64 v[2:3], v[2:3], 2.0, -v[32:33]
	v_add_f64 v[26:27], v[54:55], -v[75:76]
	v_add_f64 v[132:133], v[89:90], -v[38:39]
	v_fma_f64 v[36:37], v[42:43], 2.0, -v[12:13]
	v_fma_f64 v[38:39], v[118:119], 2.0, -v[128:129]
	s_waitcnt lgkmcnt(0)
	s_barrier
	ds_write2_b64 v101, v[4:5], v[28:29] offset1:216
	v_add_f64 v[4:5], v[30:31], -v[130:131]
	v_add_f64 v[118:119], v[120:121], -v[16:17]
	v_fma_f64 v[10:11], v[40:41], 2.0, -v[14:15]
	v_fma_f64 v[16:17], v[24:25], 2.0, -v[91:92]
	ds_write2_b64 v95, v[50:51], v[71:72] offset0:16 offset1:232
	v_add_f64 v[50:51], v[85:86], -v[18:19]
	v_mov_b32_e32 v18, 0x1b00
	v_cndmask_b32_e64 v18, 0, v18, s[0:1]
	v_lshlrev_b32_e32 v19, 3, v44
	v_add_f64 v[87:88], v[69:70], v[87:88]
	v_fma_f64 v[6:7], v[6:7], 2.0, -v[20:21]
	v_fma_f64 v[8:9], v[54:55], 2.0, -v[26:27]
	v_add_f64 v[24:25], v[2:3], -v[34:35]
	v_add_f64 v[28:29], v[32:33], -v[132:133]
	;; [unrolled: 1-line block ×5, first 2 shown]
	v_add3_u32 v134, 0, v18, v19
	v_add_f64 v[18:19], v[14:15], -v[50:51]
	v_fma_f64 v[0:1], v[0:1], 2.0, -v[22:23]
	v_fma_f64 v[30:31], v[30:31], 2.0, -v[4:5]
	v_add_u32_e32 v135, 0xd00, v134
	v_add_u32_e32 v136, 0x1d00, v46
	v_fma_f64 v[69:70], v[69:70], 2.0, -v[87:88]
	v_fma_f64 v[2:3], v[2:3], 2.0, -v[24:25]
	;; [unrolled: 1-line block ×7, first 2 shown]
	ds_write2_b64 v134, v[6:7], v[8:9] offset1:216
	ds_write2_b64 v135, v[20:21], v[26:27] offset0:16 offset1:232
	ds_write2_b64 v136, v[0:1], v[30:31] offset0:8 offset1:224
	v_lshl_add_u32 v0, v45, 3, 0
	v_add_u32_e32 v138, 0x3600, v0
	v_add_u32_e32 v139, 0x4300, v0
	v_mul_u32_u24_e32 v0, 0x1b00, v47
	v_lshlrev_b32_e32 v1, 3, v48
	v_add_f64 v[47:48], v[56:57], -v[77:78]
	v_add_f64 v[71:72], v[61:62], -v[112:113]
	v_fma_f64 v[65:66], v[65:66], 2.0, -v[75:76]
	v_add_f64 v[75:76], v[63:64], -v[83:84]
	v_add3_u32 v140, 0, v0, v1
	v_lshl_add_u32 v0, v49, 3, 0
	v_add_u32_e32 v137, 0x2a00, v46
	v_add_u32_e32 v141, 0xd00, v140
	;; [unrolled: 1-line block ×4, first 2 shown]
	v_add_f64 v[77:78], v[73:74], -v[116:117]
	ds_write2_b64 v137, v[22:23], v[4:5] offset0:24 offset1:240
	ds_write2_b64 v138, v[2:3], v[32:33] offset1:216
	ds_write2_b64 v139, v[24:25], v[28:29] offset0:16 offset1:232
	ds_write2_b64 v140, v[36:37], v[12:13] offset1:216
	ds_write2_b64 v141, v[34:35], v[38:39] offset0:16 offset1:232
	ds_write2_b64 v142, v[10:11], v[14:15] offset0:32 offset1:248
	;; [unrolled: 1-line block ×3, first 2 shown]
	s_waitcnt lgkmcnt(0)
	s_barrier
	ds_read2_b64 v[0:3], v101 offset1:144
	ds_read2_b64 v[12:15], v102 offset0:96 offset1:240
	ds_read2_b64 v[4:7], v103 offset0:64 offset1:208
	;; [unrolled: 1-line block ×4, first 2 shown]
	ds_read2_b64 v[20:23], v106 offset1:144
	ds_read2_b64 v[28:31], v108 offset0:96 offset1:240
	ds_read2_b64 v[24:27], v107 offset0:64 offset1:208
	ds_read_b64 v[54:55], v101 offset:4608
	ds_read_b64 v[44:45], v46 offset:5760
	ds_read2_b64 v[32:35], v110 offset0:32 offset1:176
	ds_read2_b64 v[40:43], v109 offset1:144
	ds_read2_b64 v[36:39], v111 offset0:96 offset1:240
	s_waitcnt lgkmcnt(0)
	s_barrier
	ds_write2_b64 v101, v[114:115], v[69:70] offset1:216
	v_fma_f64 v[69:70], v[79:80], 2.0, -v[130:131]
	v_add_f64 v[79:80], v[124:125], -v[122:123]
	v_fma_f64 v[56:57], v[56:57], 2.0, -v[47:48]
	v_fma_f64 v[61:62], v[61:62], 2.0, -v[71:72]
	;; [unrolled: 1-line block ×8, first 2 shown]
	v_add_f64 v[65:66], v[56:57], -v[65:66]
	v_add_f64 v[67:68], v[47:48], v[67:68]
	v_add_f64 v[51:52], v[61:62], -v[69:70]
	v_add_f64 v[69:70], v[71:72], v[93:94]
	;; [unrolled: 2-line block ×5, first 2 shown]
	v_fma_f64 v[56:57], v[56:57], 2.0, -v[65:66]
	v_fma_f64 v[47:48], v[47:48], 2.0, -v[67:68]
	;; [unrolled: 1-line block ×6, first 2 shown]
	s_movk_i32 s0, 0x6000
	v_fma_f64 v[73:74], v[73:74], 2.0, -v[85:86]
	v_fma_f64 v[77:78], v[77:78], 2.0, -v[89:90]
	;; [unrolled: 1-line block ×4, first 2 shown]
	ds_write2_b64 v95, v[126:127], v[87:88] offset0:16 offset1:232
	ds_write2_b64 v134, v[56:57], v[47:48] offset1:216
	ds_write2_b64 v135, v[65:66], v[67:68] offset0:16 offset1:232
	ds_write2_b64 v136, v[61:62], v[71:72] offset0:8 offset1:224
	;; [unrolled: 1-line block ×3, first 2 shown]
	ds_write2_b64 v138, v[63:64], v[75:76] offset1:216
	ds_write2_b64 v139, v[83:84], v[81:82] offset0:16 offset1:232
	ds_write2_b64 v140, v[73:74], v[77:78] offset1:216
	ds_write2_b64 v141, v[85:86], v[89:90] offset0:16 offset1:232
	ds_write2_b64 v142, v[93:94], v[79:80] offset0:32 offset1:248
	;; [unrolled: 1-line block ×3, first 2 shown]
	s_waitcnt lgkmcnt(0)
	s_barrier
	s_and_saveexec_b64 s[4:5], vcc
	s_cbranch_execz .LBB0_15
; %bb.14:
	v_mul_u32_u24_e32 v47, 3, v60
	v_lshlrev_b32_e32 v47, 4, v47
	v_mov_b32_e32 v95, s13
	v_add_co_u32_e32 v47, vcc, s12, v47
	v_addc_co_u32_e32 v48, vcc, 0, v95, vcc
	v_add_co_u32_e32 v51, vcc, 0x35a0, v47
	v_addc_co_u32_e32 v52, vcc, 0, v48, vcc
	v_add_co_u32_e32 v56, vcc, 0x3000, v47
	v_addc_co_u32_e32 v57, vcc, 0, v48, vcc
	global_load_dwordx4 v[47:50], v[51:52], off offset:32
	global_load_dwordx4 v[61:64], v[51:52], off offset:16
	;; [unrolled: 1-line block ×3, first 2 shown]
	v_mov_b32_e32 v51, 0xfffffe50
	v_mad_u32_u24 v52, v60, 3, v51
	v_lshlrev_b64 v[51:52], 4, v[52:53]
	s_movk_i32 s4, 0x35a0
	v_add_co_u32_e32 v56, vcc, s12, v51
	v_addc_co_u32_e32 v57, vcc, v95, v52, vcc
	v_add_co_u32_e32 v51, vcc, s4, v56
	s_movk_i32 s1, 0x3000
	v_addc_co_u32_e32 v52, vcc, 0, v57, vcc
	v_add_co_u32_e32 v56, vcc, s1, v56
	v_addc_co_u32_e32 v57, vcc, 0, v57, vcc
	global_load_dwordx4 v[69:72], v[51:52], off offset:16
	global_load_dwordx4 v[73:76], v[56:57], off offset:1440
	;; [unrolled: 1-line block ×3, first 2 shown]
	v_mul_lo_u32 v133, s3, v98
	v_mul_lo_u32 v134, s2, v99
	v_mad_u64_u32 v[56:57], s[2:3], s2, v98, 0
	ds_read2_b64 v[81:84], v109 offset1:144
	ds_read2_b64 v[85:88], v110 offset0:32 offset1:176
	ds_read2_b64 v[89:92], v111 offset0:96 offset1:240
	ds_read_b64 v[98:99], v46 offset:5760
	ds_read_b64 v[121:122], v101 offset:4608
	v_mov_b32_e32 v46, 0xfffffca0
	v_mad_u32_u24 v52, v60, 3, v46
	v_lshlrev_b64 v[93:94], 4, v[52:53]
	v_mov_b32_e32 v51, 0xfffffaf0
	v_add_co_u32_e32 v46, vcc, s12, v93
	v_addc_co_u32_e32 v109, vcc, v95, v94, vcc
	v_add_co_u32_e32 v93, vcc, s4, v46
	v_addc_co_u32_e32 v94, vcc, 0, v109, vcc
	;; [unrolled: 2-line block ×3, first 2 shown]
	global_load_dwordx4 v[109:112], v[123:124], off offset:1440
	global_load_dwordx4 v[113:116], v[93:94], off offset:32
	;; [unrolled: 1-line block ×3, first 2 shown]
	v_mad_u32_u24 v52, v60, 3, v51
	v_lshlrev_b64 v[51:52], 4, v[52:53]
	v_add3_u32 v57, v57, v134, v133
	v_add_co_u32_e32 v46, vcc, s12, v51
	v_addc_co_u32_e32 v132, vcc, v95, v52, vcc
	v_add_co_u32_e32 v51, vcc, s4, v46
	v_addc_co_u32_e32 v52, vcc, 0, v132, vcc
	;; [unrolled: 2-line block ×3, first 2 shown]
	s_mov_b32 s2, 0x97b425f
	s_waitcnt vmcnt(8) lgkmcnt(2)
	v_mul_f64 v[125:126], v[49:50], v[91:92]
	s_waitcnt vmcnt(7)
	v_mul_f64 v[123:124], v[61:62], v[83:84]
	v_mul_f64 v[83:84], v[63:64], v[83:84]
	;; [unrolled: 1-line block ×3, first 2 shown]
	s_waitcnt vmcnt(6)
	v_mul_f64 v[129:130], v[67:68], v[87:88]
	v_mul_f64 v[87:88], v[65:66], v[87:88]
	global_load_dwordx4 v[91:94], v[51:52], off offset:16
	v_fma_f64 v[46:47], v[38:39], v[47:48], -v[125:126]
	v_fma_f64 v[63:64], v[42:43], v[63:64], v[123:124]
	v_fma_f64 v[42:43], v[42:43], v[61:62], -v[83:84]
	v_fma_f64 v[38:39], v[38:39], v[49:50], v[127:128]
	v_fma_f64 v[48:49], v[34:35], v[67:68], v[87:88]
	v_fma_f64 v[34:35], v[34:35], v[65:66], -v[129:130]
	s_waitcnt lgkmcnt(1)
	v_add_f64 v[87:88], v[98:99], -v[63:64]
	s_waitcnt vmcnt(6)
	v_mul_f64 v[61:62], v[69:70], v[81:82]
	s_waitcnt vmcnt(5)
	v_mul_f64 v[65:66], v[75:76], v[85:86]
	v_mul_f64 v[81:82], v[71:72], v[81:82]
	v_add_f64 v[123:124], v[44:45], -v[42:43]
	v_add_f64 v[42:43], v[34:35], -v[46:47]
	v_mul_f64 v[46:47], v[73:74], v[85:86]
	s_waitcnt vmcnt(4)
	v_mul_f64 v[85:86], v[77:78], v[89:90]
	v_mul_f64 v[83:84], v[79:80], v[89:90]
	v_fma_f64 v[71:72], v[40:41], v[71:72], v[61:62]
	v_fma_f64 v[89:90], v[32:33], v[73:74], -v[65:66]
	global_load_dwordx4 v[61:64], v[131:132], off offset:1440
	global_load_dwordx4 v[65:68], v[51:52], off offset:32
	v_add_f64 v[38:39], v[48:49], -v[38:39]
	v_fma_f64 v[73:74], v[98:99], 2.0, -v[87:88]
	v_fma_f64 v[44:45], v[44:45], 2.0, -v[123:124]
	;; [unrolled: 1-line block ×3, first 2 shown]
	v_fma_f64 v[40:41], v[40:41], v[69:70], -v[81:82]
	v_fma_f64 v[69:70], v[32:33], v[75:76], v[46:47]
	v_fma_f64 v[46:47], v[36:37], v[79:80], v[85:86]
	v_fma_f64 v[50:51], v[36:37], v[77:78], -v[83:84]
	v_fma_f64 v[48:49], v[48:49], 2.0, -v[38:39]
	v_add_f64 v[32:33], v[123:124], -v[38:39]
	v_mov_b32_e32 v52, 0xfffff940
	v_add_f64 v[36:37], v[44:45], -v[98:99]
	s_waitcnt lgkmcnt(0)
	v_add_f64 v[98:99], v[121:122], -v[71:72]
	v_add_f64 v[139:140], v[54:55], -v[40:41]
	;; [unrolled: 1-line block ×3, first 2 shown]
	v_mad_u32_u24 v52, v60, 3, v52
	v_add_f64 v[38:39], v[73:74], -v[48:49]
	v_add_f64 v[34:35], v[87:88], v[42:43]
	v_fma_f64 v[40:41], v[123:124], 2.0, -v[32:33]
	v_add_f64 v[137:138], v[89:90], -v[50:51]
	v_fma_f64 v[141:142], v[121:122], 2.0, -v[98:99]
	v_fma_f64 v[54:55], v[54:55], 2.0, -v[139:140]
	;; [unrolled: 1-line block ×3, first 2 shown]
	v_lshlrev_b64 v[69:70], 4, v[52:53]
	v_fma_f64 v[46:47], v[73:74], 2.0, -v[38:39]
	v_add_co_u32_e32 v52, vcc, s12, v69
	v_addc_co_u32_e32 v60, vcc, v95, v70, vcc
	v_add_co_u32_e32 v77, vcc, s4, v52
	v_addc_co_u32_e32 v78, vcc, 0, v60, vcc
	v_add_f64 v[48:49], v[139:140], -v[71:72]
	global_load_dwordx4 v[69:72], v[77:78], off offset:32
	global_load_dwordx4 v[73:76], v[77:78], off offset:16
	v_fma_f64 v[42:43], v[87:88], 2.0, -v[34:35]
	ds_read2_b64 v[77:80], v108 offset0:96 offset1:240
	ds_read2_b64 v[81:84], v106 offset1:144
	ds_read2_b64 v[85:88], v107 offset0:64 offset1:208
	v_add_co_u32_e32 v106, vcc, s1, v52
	v_addc_co_u32_e32 v107, vcc, 0, v60, vcc
	global_load_dwordx4 v[121:124], v[106:107], off offset:1440
	v_add_co_u32_e32 v133, vcc, s4, v58
	v_addc_co_u32_e32 v134, vcc, 0, v59, vcc
	v_add_co_u32_e32 v58, vcc, s1, v58
	v_addc_co_u32_e32 v59, vcc, 0, v59, vcc
	global_load_dwordx4 v[125:128], v[133:134], off offset:16
	global_load_dwordx4 v[129:132], v[58:59], off offset:1440
	s_waitcnt vmcnt(10) lgkmcnt(1)
	v_mul_f64 v[145:146], v[111:112], v[83:84]
	global_load_dwordx4 v[133:136], v[133:134], off offset:32
	s_waitcnt vmcnt(10) lgkmcnt(0)
	v_mul_f64 v[147:148], v[115:116], v[87:88]
	s_waitcnt vmcnt(9)
	v_mul_f64 v[106:107], v[117:118], v[79:80]
	v_mul_f64 v[58:59], v[109:110], v[83:84]
	;; [unrolled: 1-line block ×3, first 2 shown]
	v_add_f64 v[50:51], v[98:99], v[137:138]
	v_mul_f64 v[79:80], v[119:120], v[79:80]
	v_fma_f64 v[145:146], v[22:23], v[109:110], -v[145:146]
	v_fma_f64 v[137:138], v[89:90], 2.0, -v[137:138]
	v_fma_f64 v[113:114], v[26:27], v[113:114], -v[147:148]
	v_fma_f64 v[119:120], v[30:31], v[119:120], v[106:107]
	v_fma_f64 v[22:23], v[22:23], v[111:112], v[58:59]
	;; [unrolled: 1-line block ×3, first 2 shown]
	ds_read2_b64 v[87:90], v105 offset0:32 offset1:176
	v_fma_f64 v[30:31], v[30:31], v[117:118], -v[79:80]
	v_fma_f64 v[107:108], v[98:99], 2.0, -v[50:51]
	s_waitcnt vmcnt(8)
	v_mul_f64 v[98:99], v[91:92], v[77:78]
	v_add_f64 v[83:84], v[145:146], -v[113:114]
	v_mul_f64 v[117:118], v[93:94], v[77:78]
	s_waitcnt lgkmcnt(0)
	v_add_f64 v[58:59], v[89:90], -v[119:120]
	v_add_f64 v[26:27], v[22:23], -v[26:27]
	;; [unrolled: 1-line block ×5, first 2 shown]
	v_fma_f64 v[93:94], v[28:29], v[93:94], v[98:99]
	v_fma_f64 v[105:106], v[139:140], 2.0, -v[48:49]
	s_waitcnt vmcnt(7)
	v_mul_f64 v[113:114], v[63:64], v[81:82]
	s_waitcnt vmcnt(6)
	v_mul_f64 v[115:116], v[67:68], v[85:86]
	v_mul_f64 v[81:82], v[61:62], v[81:82]
	;; [unrolled: 1-line block ×3, first 2 shown]
	v_fma_f64 v[28:29], v[28:29], v[91:92], -v[117:118]
	v_fma_f64 v[22:23], v[22:23], 2.0, -v[26:27]
	v_add_f64 v[79:80], v[58:59], v[83:84]
	v_add_f64 v[77:78], v[30:31], -v[26:27]
	v_fma_f64 v[98:99], v[20:21], v[61:62], -v[113:114]
	v_fma_f64 v[60:61], v[24:25], v[65:66], -v[115:116]
	v_fma_f64 v[62:63], v[20:21], v[63:64], v[81:82]
	v_fma_f64 v[20:21], v[24:25], v[67:68], v[85:86]
	v_fma_f64 v[66:67], v[89:90], 2.0, -v[58:59]
	v_add_f64 v[91:92], v[16:17], -v[28:29]
	v_add_f64 v[85:86], v[87:88], -v[93:94]
	v_fma_f64 v[81:82], v[18:19], 2.0, -v[30:31]
	v_fma_f64 v[18:19], v[54:55], 2.0, -v[109:110]
	v_add_f64 v[89:90], v[98:99], -v[60:61]
	v_fma_f64 v[24:25], v[58:59], 2.0, -v[79:80]
	v_add_f64 v[64:65], v[62:63], -v[20:21]
	v_add_f64 v[28:29], v[66:67], -v[22:23]
	v_fma_f64 v[26:27], v[145:146], 2.0, -v[83:84]
	v_fma_f64 v[22:23], v[30:31], 2.0, -v[77:78]
	;; [unrolled: 1-line block ×4, first 2 shown]
	v_add_f64 v[60:61], v[85:86], v[89:90]
	v_fma_f64 v[20:21], v[141:142], 2.0, -v[111:112]
	v_add_f64 v[58:59], v[91:92], -v[64:65]
	v_fma_f64 v[54:55], v[62:63], 2.0, -v[64:65]
	ds_read2_b64 v[62:65], v103 offset0:64 offset1:208
	v_fma_f64 v[83:84], v[66:67], 2.0, -v[28:29]
	v_fma_f64 v[66:67], v[98:99], 2.0, -v[89:90]
	ds_read2_b64 v[113:116], v102 offset0:96 offset1:240
	ds_read2_b64 v[117:120], v104 offset0:32 offset1:176
	v_fma_f64 v[87:88], v[85:86], 2.0, -v[60:61]
	ds_read2_b64 v[101:104], v101 offset1:144
	v_fma_f64 v[85:86], v[91:92], 2.0, -v[58:59]
	s_waitcnt vmcnt(4) lgkmcnt(3)
	v_mul_f64 v[93:94], v[73:74], v[64:65]
	v_add_f64 v[91:92], v[30:31], -v[54:55]
	s_waitcnt lgkmcnt(1)
	v_mul_f64 v[98:99], v[71:72], v[119:120]
	v_add_f64 v[89:90], v[16:17], -v[66:67]
	v_mul_f64 v[119:120], v[69:70], v[119:120]
	v_add_f64 v[26:27], v[81:82], -v[26:27]
	v_fma_f64 v[44:45], v[44:45], 2.0, -v[36:37]
	v_fma_f64 v[54:55], v[6:7], v[75:76], v[93:94]
	s_waitcnt vmcnt(3)
	v_mul_f64 v[93:94], v[123:124], v[115:116]
	v_mul_f64 v[75:76], v[75:76], v[64:65]
	;; [unrolled: 1-line block ×3, first 2 shown]
	v_fma_f64 v[66:67], v[30:31], 2.0, -v[91:92]
	v_fma_f64 v[64:65], v[16:17], 2.0, -v[89:90]
	;; [unrolled: 1-line block ×3, first 2 shown]
	s_waitcnt lgkmcnt(0)
	v_add_f64 v[16:17], v[103:104], -v[54:55]
	v_fma_f64 v[30:31], v[14:15], v[121:122], -v[93:94]
	v_fma_f64 v[54:55], v[10:11], v[69:70], -v[98:99]
	;; [unrolled: 1-line block ×3, first 2 shown]
	v_fma_f64 v[14:15], v[14:15], v[123:124], v[115:116]
	v_fma_f64 v[10:11], v[10:11], v[71:72], v[119:120]
	s_waitcnt vmcnt(2)
	v_mul_f64 v[68:69], v[125:126], v[62:63]
	s_waitcnt vmcnt(1)
	v_mul_f64 v[70:71], v[131:132], v[113:114]
	v_mul_f64 v[72:73], v[129:130], v[113:114]
	s_waitcnt vmcnt(0)
	v_mul_f64 v[74:75], v[133:134], v[117:118]
	v_mul_f64 v[62:63], v[127:128], v[62:63]
	v_mul_f64 v[93:94], v[135:136], v[117:118]
	v_add_f64 v[98:99], v[2:3], -v[6:7]
	v_add_f64 v[6:7], v[14:15], -v[10:11]
	v_fma_f64 v[10:11], v[4:5], v[127:128], v[68:69]
	v_fma_f64 v[68:69], v[12:13], v[129:130], -v[70:71]
	v_fma_f64 v[12:13], v[12:13], v[131:132], v[72:73]
	v_fma_f64 v[70:71], v[8:9], v[135:136], v[74:75]
	v_fma_f64 v[4:5], v[4:5], v[125:126], -v[62:63]
	v_fma_f64 v[8:9], v[8:9], v[133:134], -v[93:94]
	v_add_f64 v[54:55], v[30:31], -v[54:55]
	v_fma_f64 v[62:63], v[103:104], 2.0, -v[16:17]
	v_add_f64 v[103:104], v[101:102], -v[10:11]
	v_fma_f64 v[93:94], v[2:3], 2.0, -v[98:99]
	v_fma_f64 v[14:15], v[14:15], 2.0, -v[6:7]
	v_add_f64 v[10:11], v[12:13], -v[70:71]
	v_add_f64 v[113:114], v[0:1], -v[4:5]
	;; [unrolled: 1-line block ×3, first 2 shown]
	v_fma_f64 v[30:31], v[30:31], 2.0, -v[54:55]
	v_add_f64 v[4:5], v[16:17], v[54:55]
	v_fma_f64 v[54:55], v[101:102], 2.0, -v[103:104]
	v_add_f64 v[2:3], v[98:99], -v[6:7]
	v_add_f64 v[8:9], v[62:63], -v[14:15]
	v_fma_f64 v[72:73], v[12:13], 2.0, -v[10:11]
	v_fma_f64 v[0:1], v[0:1], 2.0, -v[113:114]
	;; [unrolled: 1-line block ×3, first 2 shown]
	v_add_f64 v[10:11], v[113:114], -v[10:11]
	v_add_f64 v[6:7], v[93:94], -v[30:31]
	v_lshrrev_b32_e32 v30, 5, v100
	v_add_f64 v[12:13], v[103:104], v[70:71]
	v_mul_hi_u32 v30, v30, s2
	v_add_f64 v[74:75], v[54:55], -v[72:73]
	v_mov_b32_e32 v31, s11
	v_add_f64 v[72:73], v[0:1], -v[68:69]
	v_fma_f64 v[101:102], v[113:114], 2.0, -v[10:11]
	v_fma_f64 v[70:71], v[62:63], 2.0, -v[8:9]
	;; [unrolled: 1-line block ×8, first 2 shown]
	v_mul_u32_u24_e32 v0, 0x360, v30
	v_sub_u32_e32 v30, v100, v0
	v_lshlrev_b64 v[0:1], 4, v[56:57]
	v_add_co_u32_e32 v52, vcc, s10, v0
	v_addc_co_u32_e32 v31, vcc, v31, v1, vcc
	v_lshlrev_b64 v[0:1], 4, v[96:97]
	v_add_co_u32_e32 v54, vcc, v52, v0
	v_addc_co_u32_e32 v55, vcc, v31, v1, vcc
	v_lshlrev_b32_e32 v0, 4, v30
	v_add_co_u32_e32 v0, vcc, v54, v0
	v_addc_co_u32_e32 v1, vcc, 0, v55, vcc
	v_add_co_u32_e32 v30, vcc, s1, v0
	v_addc_co_u32_e32 v31, vcc, 0, v1, vcc
	global_store_dwordx4 v[30:31], v[101:104], off offset:1536
	v_add_co_u32_e32 v30, vcc, s0, v0
	v_addc_co_u32_e32 v31, vcc, 0, v1, vcc
	global_store_dwordx4 v[30:31], v[72:75], off offset:3072
	v_add_u32_e32 v30, 0x90, v100
	v_lshrrev_b32_e32 v31, 5, v30
	v_mul_hi_u32 v31, v31, s2
	s_mov_b32 s0, 0xa000
	global_store_dwordx4 v[0:1], v[113:116], off
	v_add_co_u32_e32 v0, vcc, s0, v0
	v_addc_co_u32_e32 v1, vcc, 0, v1, vcc
	global_store_dwordx4 v[0:1], v[10:13], off offset:512
	v_mul_u32_u24_e32 v0, 0x360, v31
	v_sub_u32_e32 v0, v30, v0
	s_movk_i32 s0, 0xd80
	v_mad_u32_u24 v52, v31, s0, v0
	v_lshlrev_b64 v[0:1], 4, v[52:53]
	v_add_co_u32_e32 v0, vcc, v54, v0
	v_addc_co_u32_e32 v1, vcc, v55, v1, vcc
	global_store_dwordx4 v[0:1], v[68:71], off
	v_add_u32_e32 v0, 0x360, v52
	v_mov_b32_e32 v1, v53
	v_lshlrev_b64 v[0:1], 4, v[0:1]
	v_add_co_u32_e32 v0, vcc, v54, v0
	v_addc_co_u32_e32 v1, vcc, v55, v1, vcc
	global_store_dwordx4 v[0:1], v[14:17], off
	v_add_u32_e32 v0, 0x6c0, v52
	v_mov_b32_e32 v1, v53
	v_lshlrev_b64 v[0:1], 4, v[0:1]
	v_add_u32_e32 v52, 0xa20, v52
	v_add_co_u32_e32 v0, vcc, v54, v0
	v_addc_co_u32_e32 v1, vcc, v55, v1, vcc
	global_store_dwordx4 v[0:1], v[6:9], off
	v_lshlrev_b64 v[0:1], 4, v[52:53]
	v_add_u32_e32 v6, 0x120, v100
	v_lshrrev_b32_e32 v7, 5, v6
	v_mul_hi_u32 v7, v7, s2
	v_add_co_u32_e32 v0, vcc, v54, v0
	v_addc_co_u32_e32 v1, vcc, v55, v1, vcc
	global_store_dwordx4 v[0:1], v[2:5], off
	v_mul_u32_u24_e32 v0, 0x360, v7
	v_sub_u32_e32 v0, v6, v0
	v_mad_u32_u24 v52, v7, s0, v0
	v_lshlrev_b64 v[0:1], 4, v[52:53]
	v_add_u32_e32 v2, 0x1b0, v100
	v_add_co_u32_e32 v0, vcc, v54, v0
	v_addc_co_u32_e32 v1, vcc, v55, v1, vcc
	global_store_dwordx4 v[0:1], v[64:67], off
	v_add_u32_e32 v0, 0x360, v52
	v_mov_b32_e32 v1, v53
	v_lshlrev_b64 v[0:1], 4, v[0:1]
	v_lshrrev_b32_e32 v3, 5, v2
	v_add_co_u32_e32 v0, vcc, v54, v0
	v_addc_co_u32_e32 v1, vcc, v55, v1, vcc
	global_store_dwordx4 v[0:1], v[85:88], off
	v_add_u32_e32 v0, 0x6c0, v52
	v_mov_b32_e32 v1, v53
	v_lshlrev_b64 v[0:1], 4, v[0:1]
	v_add_u32_e32 v52, 0xa20, v52
	v_add_co_u32_e32 v0, vcc, v54, v0
	v_addc_co_u32_e32 v1, vcc, v55, v1, vcc
	global_store_dwordx4 v[0:1], v[89:92], off
	v_lshlrev_b64 v[0:1], 4, v[52:53]
	v_mul_hi_u32 v3, v3, s2
	v_add_co_u32_e32 v0, vcc, v54, v0
	v_addc_co_u32_e32 v1, vcc, v55, v1, vcc
	global_store_dwordx4 v[0:1], v[58:61], off
	v_mul_u32_u24_e32 v0, 0x360, v3
	v_sub_u32_e32 v0, v2, v0
	v_mad_u32_u24 v52, v3, s0, v0
	v_lshlrev_b64 v[0:1], 4, v[52:53]
	v_add_u32_e32 v2, 0x240, v100
	v_add_co_u32_e32 v0, vcc, v54, v0
	v_addc_co_u32_e32 v1, vcc, v55, v1, vcc
	global_store_dwordx4 v[0:1], v[81:84], off
	v_add_u32_e32 v0, 0x360, v52
	v_mov_b32_e32 v1, v53
	v_lshlrev_b64 v[0:1], 4, v[0:1]
	v_lshrrev_b32_e32 v3, 5, v2
	v_add_co_u32_e32 v0, vcc, v54, v0
	v_addc_co_u32_e32 v1, vcc, v55, v1, vcc
	global_store_dwordx4 v[0:1], v[22:25], off
	v_add_u32_e32 v0, 0x6c0, v52
	v_mov_b32_e32 v1, v53
	v_lshlrev_b64 v[0:1], 4, v[0:1]
	v_add_u32_e32 v52, 0xa20, v52
	v_add_co_u32_e32 v0, vcc, v54, v0
	v_addc_co_u32_e32 v1, vcc, v55, v1, vcc
	global_store_dwordx4 v[0:1], v[26:29], off
	v_lshlrev_b64 v[0:1], 4, v[52:53]
	v_mul_hi_u32 v3, v3, s2
	v_add_co_u32_e32 v0, vcc, v54, v0
	v_addc_co_u32_e32 v1, vcc, v55, v1, vcc
	global_store_dwordx4 v[0:1], v[77:80], off
	v_mul_u32_u24_e32 v0, 0x360, v3
	v_sub_u32_e32 v0, v2, v0
	v_mad_u32_u24 v52, v3, s0, v0
	v_lshlrev_b64 v[0:1], 4, v[52:53]
	v_add_u32_e32 v2, 0x2d0, v100
	v_add_co_u32_e32 v0, vcc, v54, v0
	v_addc_co_u32_e32 v1, vcc, v55, v1, vcc
	global_store_dwordx4 v[0:1], v[18:21], off
	v_add_u32_e32 v0, 0x360, v52
	v_mov_b32_e32 v1, v53
	v_lshlrev_b64 v[0:1], 4, v[0:1]
	v_lshrrev_b32_e32 v3, 5, v2
	v_add_co_u32_e32 v0, vcc, v54, v0
	v_addc_co_u32_e32 v1, vcc, v55, v1, vcc
	global_store_dwordx4 v[0:1], v[105:108], off
	v_add_u32_e32 v0, 0x6c0, v52
	v_mov_b32_e32 v1, v53
	v_lshlrev_b64 v[0:1], 4, v[0:1]
	v_add_u32_e32 v52, 0xa20, v52
	v_add_co_u32_e32 v0, vcc, v54, v0
	v_addc_co_u32_e32 v1, vcc, v55, v1, vcc
	global_store_dwordx4 v[0:1], v[109:112], off
	v_lshlrev_b64 v[0:1], 4, v[52:53]
	v_mul_hi_u32 v3, v3, s2
	v_add_co_u32_e32 v0, vcc, v54, v0
	v_addc_co_u32_e32 v1, vcc, v55, v1, vcc
	global_store_dwordx4 v[0:1], v[48:51], off
	v_mul_u32_u24_e32 v0, 0x360, v3
	v_sub_u32_e32 v0, v2, v0
	v_mad_u32_u24 v52, v3, s0, v0
	v_lshlrev_b64 v[0:1], 4, v[52:53]
	v_add_co_u32_e32 v0, vcc, v54, v0
	v_addc_co_u32_e32 v1, vcc, v55, v1, vcc
	global_store_dwordx4 v[0:1], v[44:47], off
	v_add_u32_e32 v0, 0x360, v52
	v_mov_b32_e32 v1, v53
	v_lshlrev_b64 v[0:1], 4, v[0:1]
	v_add_co_u32_e32 v0, vcc, v54, v0
	v_addc_co_u32_e32 v1, vcc, v55, v1, vcc
	global_store_dwordx4 v[0:1], v[40:43], off
	v_add_u32_e32 v0, 0x6c0, v52
	v_mov_b32_e32 v1, v53
	v_lshlrev_b64 v[0:1], 4, v[0:1]
	v_add_u32_e32 v52, 0xa20, v52
	v_add_co_u32_e32 v0, vcc, v54, v0
	v_addc_co_u32_e32 v1, vcc, v55, v1, vcc
	global_store_dwordx4 v[0:1], v[36:39], off
	v_lshlrev_b64 v[0:1], 4, v[52:53]
	v_add_co_u32_e32 v0, vcc, v54, v0
	v_addc_co_u32_e32 v1, vcc, v55, v1, vcc
	global_store_dwordx4 v[0:1], v[32:35], off
.LBB0_15:
	s_endpgm
	.section	.rodata,"a",@progbits
	.p2align	6, 0x0
	.amdhsa_kernel fft_rtc_fwd_len3456_factors_6_6_6_4_4_wgs_144_tpt_144_halfLds_dp_op_CI_CI_unitstride_sbrr_dirReg
		.amdhsa_group_segment_fixed_size 0
		.amdhsa_private_segment_fixed_size 0
		.amdhsa_kernarg_size 104
		.amdhsa_user_sgpr_count 6
		.amdhsa_user_sgpr_private_segment_buffer 1
		.amdhsa_user_sgpr_dispatch_ptr 0
		.amdhsa_user_sgpr_queue_ptr 0
		.amdhsa_user_sgpr_kernarg_segment_ptr 1
		.amdhsa_user_sgpr_dispatch_id 0
		.amdhsa_user_sgpr_flat_scratch_init 0
		.amdhsa_user_sgpr_private_segment_size 0
		.amdhsa_uses_dynamic_stack 0
		.amdhsa_system_sgpr_private_segment_wavefront_offset 0
		.amdhsa_system_sgpr_workgroup_id_x 1
		.amdhsa_system_sgpr_workgroup_id_y 0
		.amdhsa_system_sgpr_workgroup_id_z 0
		.amdhsa_system_sgpr_workgroup_info 0
		.amdhsa_system_vgpr_workitem_id 0
		.amdhsa_next_free_vgpr 171
		.amdhsa_next_free_sgpr 28
		.amdhsa_reserve_vcc 1
		.amdhsa_reserve_flat_scratch 0
		.amdhsa_float_round_mode_32 0
		.amdhsa_float_round_mode_16_64 0
		.amdhsa_float_denorm_mode_32 3
		.amdhsa_float_denorm_mode_16_64 3
		.amdhsa_dx10_clamp 1
		.amdhsa_ieee_mode 1
		.amdhsa_fp16_overflow 0
		.amdhsa_exception_fp_ieee_invalid_op 0
		.amdhsa_exception_fp_denorm_src 0
		.amdhsa_exception_fp_ieee_div_zero 0
		.amdhsa_exception_fp_ieee_overflow 0
		.amdhsa_exception_fp_ieee_underflow 0
		.amdhsa_exception_fp_ieee_inexact 0
		.amdhsa_exception_int_div_zero 0
	.end_amdhsa_kernel
	.text
.Lfunc_end0:
	.size	fft_rtc_fwd_len3456_factors_6_6_6_4_4_wgs_144_tpt_144_halfLds_dp_op_CI_CI_unitstride_sbrr_dirReg, .Lfunc_end0-fft_rtc_fwd_len3456_factors_6_6_6_4_4_wgs_144_tpt_144_halfLds_dp_op_CI_CI_unitstride_sbrr_dirReg
                                        ; -- End function
	.section	.AMDGPU.csdata,"",@progbits
; Kernel info:
; codeLenInByte = 15336
; NumSgprs: 32
; NumVgprs: 171
; ScratchSize: 0
; MemoryBound: 1
; FloatMode: 240
; IeeeMode: 1
; LDSByteSize: 0 bytes/workgroup (compile time only)
; SGPRBlocks: 3
; VGPRBlocks: 42
; NumSGPRsForWavesPerEU: 32
; NumVGPRsForWavesPerEU: 171
; Occupancy: 1
; WaveLimiterHint : 1
; COMPUTE_PGM_RSRC2:SCRATCH_EN: 0
; COMPUTE_PGM_RSRC2:USER_SGPR: 6
; COMPUTE_PGM_RSRC2:TRAP_HANDLER: 0
; COMPUTE_PGM_RSRC2:TGID_X_EN: 1
; COMPUTE_PGM_RSRC2:TGID_Y_EN: 0
; COMPUTE_PGM_RSRC2:TGID_Z_EN: 0
; COMPUTE_PGM_RSRC2:TIDIG_COMP_CNT: 0
	.type	__hip_cuid_235054734f1c3f1c,@object ; @__hip_cuid_235054734f1c3f1c
	.section	.bss,"aw",@nobits
	.globl	__hip_cuid_235054734f1c3f1c
__hip_cuid_235054734f1c3f1c:
	.byte	0                               ; 0x0
	.size	__hip_cuid_235054734f1c3f1c, 1

	.ident	"AMD clang version 19.0.0git (https://github.com/RadeonOpenCompute/llvm-project roc-6.4.0 25133 c7fe45cf4b819c5991fe208aaa96edf142730f1d)"
	.section	".note.GNU-stack","",@progbits
	.addrsig
	.addrsig_sym __hip_cuid_235054734f1c3f1c
	.amdgpu_metadata
---
amdhsa.kernels:
  - .args:
      - .actual_access:  read_only
        .address_space:  global
        .offset:         0
        .size:           8
        .value_kind:     global_buffer
      - .offset:         8
        .size:           8
        .value_kind:     by_value
      - .actual_access:  read_only
        .address_space:  global
        .offset:         16
        .size:           8
        .value_kind:     global_buffer
      - .actual_access:  read_only
        .address_space:  global
        .offset:         24
        .size:           8
        .value_kind:     global_buffer
      - .actual_access:  read_only
        .address_space:  global
        .offset:         32
        .size:           8
        .value_kind:     global_buffer
      - .offset:         40
        .size:           8
        .value_kind:     by_value
      - .actual_access:  read_only
        .address_space:  global
        .offset:         48
        .size:           8
        .value_kind:     global_buffer
      - .actual_access:  read_only
        .address_space:  global
        .offset:         56
        .size:           8
        .value_kind:     global_buffer
      - .offset:         64
        .size:           4
        .value_kind:     by_value
      - .actual_access:  read_only
        .address_space:  global
        .offset:         72
        .size:           8
        .value_kind:     global_buffer
      - .actual_access:  read_only
        .address_space:  global
        .offset:         80
        .size:           8
        .value_kind:     global_buffer
      - .actual_access:  read_only
        .address_space:  global
        .offset:         88
        .size:           8
        .value_kind:     global_buffer
      - .actual_access:  write_only
        .address_space:  global
        .offset:         96
        .size:           8
        .value_kind:     global_buffer
    .group_segment_fixed_size: 0
    .kernarg_segment_align: 8
    .kernarg_segment_size: 104
    .language:       OpenCL C
    .language_version:
      - 2
      - 0
    .max_flat_workgroup_size: 144
    .name:           fft_rtc_fwd_len3456_factors_6_6_6_4_4_wgs_144_tpt_144_halfLds_dp_op_CI_CI_unitstride_sbrr_dirReg
    .private_segment_fixed_size: 0
    .sgpr_count:     32
    .sgpr_spill_count: 0
    .symbol:         fft_rtc_fwd_len3456_factors_6_6_6_4_4_wgs_144_tpt_144_halfLds_dp_op_CI_CI_unitstride_sbrr_dirReg.kd
    .uniform_work_group_size: 1
    .uses_dynamic_stack: false
    .vgpr_count:     171
    .vgpr_spill_count: 0
    .wavefront_size: 64
amdhsa.target:   amdgcn-amd-amdhsa--gfx906
amdhsa.version:
  - 1
  - 2
...

	.end_amdgpu_metadata
